;; amdgpu-corpus repo=ROCm/rocFFT kind=compiled arch=gfx950 opt=O3
	.text
	.amdgcn_target "amdgcn-amd-amdhsa--gfx950"
	.amdhsa_code_object_version 6
	.protected	fft_rtc_back_len1190_factors_17_2_5_7_wgs_255_tpt_85_halfLds_dp_ip_CI_unitstride_sbrr_dirReg ; -- Begin function fft_rtc_back_len1190_factors_17_2_5_7_wgs_255_tpt_85_halfLds_dp_ip_CI_unitstride_sbrr_dirReg
	.globl	fft_rtc_back_len1190_factors_17_2_5_7_wgs_255_tpt_85_halfLds_dp_ip_CI_unitstride_sbrr_dirReg
	.p2align	8
	.type	fft_rtc_back_len1190_factors_17_2_5_7_wgs_255_tpt_85_halfLds_dp_ip_CI_unitstride_sbrr_dirReg,@function
fft_rtc_back_len1190_factors_17_2_5_7_wgs_255_tpt_85_halfLds_dp_ip_CI_unitstride_sbrr_dirReg: ; @fft_rtc_back_len1190_factors_17_2_5_7_wgs_255_tpt_85_halfLds_dp_ip_CI_unitstride_sbrr_dirReg
; %bb.0:
	s_load_dwordx2 s[8:9], s[0:1], 0x50
	s_load_dwordx4 s[4:7], s[0:1], 0x0
	s_load_dwordx2 s[10:11], s[0:1], 0x18
	v_mul_u32_u24_e32 v1, 0x304, v0
	v_lshrrev_b32_e32 v2, 16, v1
	v_mad_u64_u32 v[68:69], s[2:3], s2, 3, v[2:3]
	v_mov_b32_e32 v4, 0
	v_mov_b32_e32 v69, v4
	s_waitcnt lgkmcnt(0)
	v_cmp_lt_u64_e64 s[2:3], s[6:7], 2
	s_and_b64 vcc, exec, s[2:3]
	v_mov_b64_e32 v[2:3], 0
	v_mov_b64_e32 v[8:9], v[68:69]
	s_cbranch_vccnz .LBB0_8
; %bb.1:
	s_load_dwordx2 s[2:3], s[0:1], 0x10
	s_add_u32 s12, s10, 8
	s_addc_u32 s13, s11, 0
	s_mov_b64 s[14:15], 1
	v_mov_b64_e32 v[2:3], 0
	s_waitcnt lgkmcnt(0)
	s_add_u32 s16, s2, 8
	s_addc_u32 s17, s3, 0
	v_mov_b64_e32 v[6:7], v[68:69]
.LBB0_2:                                ; =>This Inner Loop Header: Depth=1
	s_load_dwordx2 s[18:19], s[16:17], 0x0
                                        ; implicit-def: $vgpr8_vgpr9
	s_waitcnt lgkmcnt(0)
	v_or_b32_e32 v5, s19, v7
	v_cmp_ne_u64_e32 vcc, 0, v[4:5]
	s_and_saveexec_b64 s[2:3], vcc
	s_xor_b64 s[20:21], exec, s[2:3]
	s_cbranch_execz .LBB0_4
; %bb.3:                                ;   in Loop: Header=BB0_2 Depth=1
	v_cvt_f32_u32_e32 v1, s18
	v_cvt_f32_u32_e32 v5, s19
	s_sub_u32 s2, 0, s18
	s_subb_u32 s3, 0, s19
	v_fmac_f32_e32 v1, 0x4f800000, v5
	v_rcp_f32_e32 v1, v1
	s_nop 0
	v_mul_f32_e32 v1, 0x5f7ffffc, v1
	v_mul_f32_e32 v5, 0x2f800000, v1
	v_trunc_f32_e32 v5, v5
	v_fmac_f32_e32 v1, 0xcf800000, v5
	v_cvt_u32_f32_e32 v5, v5
	v_cvt_u32_f32_e32 v1, v1
	v_mul_lo_u32 v8, s2, v5
	v_mul_hi_u32 v10, s2, v1
	v_mul_lo_u32 v9, s3, v1
	v_add_u32_e32 v10, v10, v8
	v_mul_lo_u32 v12, s2, v1
	v_add_u32_e32 v13, v10, v9
	v_mul_hi_u32 v8, v1, v12
	v_mul_hi_u32 v11, v1, v13
	v_mul_lo_u32 v10, v1, v13
	v_mov_b32_e32 v9, v4
	v_lshl_add_u64 v[8:9], v[8:9], 0, v[10:11]
	v_mul_hi_u32 v11, v5, v12
	v_mul_lo_u32 v12, v5, v12
	v_add_co_u32_e32 v8, vcc, v8, v12
	v_mul_hi_u32 v10, v5, v13
	s_nop 0
	v_addc_co_u32_e32 v8, vcc, v9, v11, vcc
	v_mov_b32_e32 v9, v4
	s_nop 0
	v_addc_co_u32_e32 v11, vcc, 0, v10, vcc
	v_mul_lo_u32 v10, v5, v13
	v_lshl_add_u64 v[8:9], v[8:9], 0, v[10:11]
	v_add_co_u32_e32 v1, vcc, v1, v8
	v_mul_lo_u32 v10, s2, v1
	s_nop 0
	v_addc_co_u32_e32 v5, vcc, v5, v9, vcc
	v_mul_lo_u32 v8, s2, v5
	v_mul_hi_u32 v9, s2, v1
	v_add_u32_e32 v8, v9, v8
	v_mul_lo_u32 v9, s3, v1
	v_add_u32_e32 v12, v8, v9
	v_mul_hi_u32 v14, v5, v10
	v_mul_lo_u32 v15, v5, v10
	v_mul_hi_u32 v9, v1, v12
	v_mul_lo_u32 v8, v1, v12
	v_mul_hi_u32 v10, v1, v10
	v_mov_b32_e32 v11, v4
	v_lshl_add_u64 v[8:9], v[10:11], 0, v[8:9]
	v_add_co_u32_e32 v8, vcc, v8, v15
	v_mul_hi_u32 v13, v5, v12
	s_nop 0
	v_addc_co_u32_e32 v8, vcc, v9, v14, vcc
	v_mul_lo_u32 v10, v5, v12
	s_nop 0
	v_addc_co_u32_e32 v11, vcc, 0, v13, vcc
	v_mov_b32_e32 v9, v4
	v_lshl_add_u64 v[8:9], v[8:9], 0, v[10:11]
	v_add_co_u32_e32 v1, vcc, v1, v8
	v_mul_hi_u32 v10, v6, v1
	s_nop 0
	v_addc_co_u32_e32 v5, vcc, v5, v9, vcc
	v_mad_u64_u32 v[8:9], s[2:3], v6, v5, 0
	v_mov_b32_e32 v11, v4
	v_lshl_add_u64 v[8:9], v[10:11], 0, v[8:9]
	v_mad_u64_u32 v[12:13], s[2:3], v7, v1, 0
	v_add_co_u32_e32 v1, vcc, v8, v12
	v_mad_u64_u32 v[10:11], s[2:3], v7, v5, 0
	s_nop 0
	v_addc_co_u32_e32 v8, vcc, v9, v13, vcc
	v_mov_b32_e32 v9, v4
	s_nop 0
	v_addc_co_u32_e32 v11, vcc, 0, v11, vcc
	v_lshl_add_u64 v[8:9], v[8:9], 0, v[10:11]
	v_mul_lo_u32 v1, s19, v8
	v_mul_lo_u32 v5, s18, v9
	v_mad_u64_u32 v[10:11], s[2:3], s18, v8, 0
	v_add3_u32 v1, v11, v5, v1
	v_sub_u32_e32 v5, v7, v1
	v_mov_b32_e32 v11, s19
	v_sub_co_u32_e32 v14, vcc, v6, v10
	v_lshl_add_u64 v[12:13], v[8:9], 0, 1
	s_nop 0
	v_subb_co_u32_e64 v5, s[2:3], v5, v11, vcc
	v_subrev_co_u32_e64 v10, s[2:3], s18, v14
	v_subb_co_u32_e32 v1, vcc, v7, v1, vcc
	s_nop 0
	v_subbrev_co_u32_e64 v5, s[2:3], 0, v5, s[2:3]
	v_cmp_le_u32_e64 s[2:3], s19, v5
	v_cmp_le_u32_e32 vcc, s19, v1
	s_nop 0
	v_cndmask_b32_e64 v11, 0, -1, s[2:3]
	v_cmp_le_u32_e64 s[2:3], s18, v10
	s_nop 1
	v_cndmask_b32_e64 v10, 0, -1, s[2:3]
	v_cmp_eq_u32_e64 s[2:3], s19, v5
	s_nop 1
	v_cndmask_b32_e64 v5, v11, v10, s[2:3]
	v_lshl_add_u64 v[10:11], v[8:9], 0, 2
	v_cmp_ne_u32_e64 s[2:3], 0, v5
	s_nop 1
	v_cndmask_b32_e64 v5, v13, v11, s[2:3]
	v_cndmask_b32_e64 v11, 0, -1, vcc
	v_cmp_le_u32_e32 vcc, s18, v14
	s_nop 1
	v_cndmask_b32_e64 v13, 0, -1, vcc
	v_cmp_eq_u32_e32 vcc, s19, v1
	s_nop 1
	v_cndmask_b32_e32 v1, v11, v13, vcc
	v_cmp_ne_u32_e32 vcc, 0, v1
	v_cndmask_b32_e64 v1, v12, v10, s[2:3]
	s_nop 0
	v_cndmask_b32_e32 v9, v9, v5, vcc
	v_cndmask_b32_e32 v8, v8, v1, vcc
.LBB0_4:                                ;   in Loop: Header=BB0_2 Depth=1
	s_andn2_saveexec_b64 s[2:3], s[20:21]
	s_cbranch_execz .LBB0_6
; %bb.5:                                ;   in Loop: Header=BB0_2 Depth=1
	v_cvt_f32_u32_e32 v1, s18
	s_sub_i32 s20, 0, s18
	v_rcp_iflag_f32_e32 v1, v1
	s_nop 0
	v_mul_f32_e32 v1, 0x4f7ffffe, v1
	v_cvt_u32_f32_e32 v1, v1
	v_mul_lo_u32 v5, s20, v1
	v_mul_hi_u32 v5, v1, v5
	v_add_u32_e32 v1, v1, v5
	v_mul_hi_u32 v1, v6, v1
	v_mul_lo_u32 v5, v1, s18
	v_sub_u32_e32 v5, v6, v5
	v_add_u32_e32 v8, 1, v1
	v_subrev_u32_e32 v9, s18, v5
	v_cmp_le_u32_e32 vcc, s18, v5
	s_nop 1
	v_cndmask_b32_e32 v5, v5, v9, vcc
	v_cndmask_b32_e32 v1, v1, v8, vcc
	v_add_u32_e32 v8, 1, v1
	v_cmp_le_u32_e32 vcc, s18, v5
	v_mov_b32_e32 v9, v4
	s_nop 0
	v_cndmask_b32_e32 v8, v1, v8, vcc
.LBB0_6:                                ;   in Loop: Header=BB0_2 Depth=1
	s_or_b64 exec, exec, s[2:3]
	v_mad_u64_u32 v[10:11], s[2:3], v8, s18, 0
	s_load_dwordx2 s[2:3], s[12:13], 0x0
	v_mul_lo_u32 v1, v9, s18
	v_mul_lo_u32 v5, v8, s19
	v_add3_u32 v1, v11, v5, v1
	v_sub_co_u32_e32 v5, vcc, v6, v10
	s_add_u32 s14, s14, 1
	s_nop 0
	v_subb_co_u32_e32 v1, vcc, v7, v1, vcc
	s_addc_u32 s15, s15, 0
	s_waitcnt lgkmcnt(0)
	v_mul_lo_u32 v1, s2, v1
	v_mul_lo_u32 v6, s3, v5
	v_mad_u64_u32 v[2:3], s[2:3], s2, v5, v[2:3]
	s_add_u32 s12, s12, 8
	v_add3_u32 v3, v6, v3, v1
	s_addc_u32 s13, s13, 0
	v_mov_b64_e32 v[6:7], s[6:7]
	s_add_u32 s16, s16, 8
	v_cmp_ge_u64_e32 vcc, s[14:15], v[6:7]
	s_addc_u32 s17, s17, 0
	s_cbranch_vccnz .LBB0_8
; %bb.7:                                ;   in Loop: Header=BB0_2 Depth=1
	v_mov_b64_e32 v[6:7], v[8:9]
	s_branch .LBB0_2
.LBB0_8:
	s_lshl_b64 s[2:3], s[6:7], 3
	s_add_u32 s2, s10, s2
	s_addc_u32 s3, s11, s3
	s_load_dwordx2 s[6:7], s[2:3], 0x0
	s_load_dwordx2 s[10:11], s[0:1], 0x20
                                        ; implicit-def: $vgpr66_vgpr67
                                        ; implicit-def: $vgpr54_vgpr55
                                        ; implicit-def: $vgpr50_vgpr51
                                        ; implicit-def: $vgpr58_vgpr59
                                        ; implicit-def: $vgpr62_vgpr63
                                        ; implicit-def: $vgpr46_vgpr47
                                        ; implicit-def: $vgpr42_vgpr43
                                        ; implicit-def: $vgpr38_vgpr39
                                        ; implicit-def: $vgpr34_vgpr35
                                        ; implicit-def: $vgpr30_vgpr31
                                        ; implicit-def: $vgpr26_vgpr27
                                        ; implicit-def: $vgpr22_vgpr23
                                        ; implicit-def: $vgpr18_vgpr19
                                        ; implicit-def: $vgpr14_vgpr15
                                        ; implicit-def: $vgpr10_vgpr11
                                        ; implicit-def: $vgpr6_vgpr7
	s_waitcnt lgkmcnt(0)
	v_mad_u64_u32 v[2:3], s[0:1], s6, v8, v[2:3]
	v_mul_lo_u32 v1, s6, v9
	v_mul_lo_u32 v4, s7, v8
	s_mov_b32 s0, 0x3030304
	v_add3_u32 v3, v4, v3, v1
	v_mul_hi_u32 v1, v0, s0
	v_mul_u32_u24_e32 v1, 0x55, v1
	v_sub_u32_e32 v96, v0, v1
	s_movk_i32 s0, 0x46
	v_cmp_gt_u64_e32 vcc, s[10:11], v[8:9]
	v_cmp_gt_u32_e64 s[0:1], s0, v96
	s_and_b64 s[2:3], vcc, s[0:1]
	v_lshl_add_u64 v[98:99], v[2:3], 4, s[8:9]
                                        ; implicit-def: $vgpr2_vgpr3
	s_and_saveexec_b64 s[6:7], s[2:3]
	s_cbranch_execz .LBB0_10
; %bb.9:
	v_mov_b32_e32 v97, 0
	v_lshl_add_u64 v[48:49], v[96:97], 4, v[98:99]
	s_movk_i32 s2, 0x1000
	v_add_co_u32_e64 v32, s[2:3], s2, v48
	global_load_dwordx4 v[0:3], v[48:49], off
	global_load_dwordx4 v[4:7], v[48:49], off offset:1120
	global_load_dwordx4 v[8:11], v[48:49], off offset:2240
	;; [unrolled: 1-line block ×3, first 2 shown]
	v_addc_co_u32_e64 v33, s[2:3], 0, v49, s[2:3]
	s_movk_i32 s2, 0x2000
	s_nop 0
	v_add_co_u32_e64 v50, s[2:3], s2, v48
	global_load_dwordx4 v[16:19], v[32:33], off offset:384
	global_load_dwordx4 v[20:23], v[32:33], off offset:1504
	;; [unrolled: 1-line block ×4, first 2 shown]
	v_addc_co_u32_e64 v51, s[2:3], 0, v49, s[2:3]
	s_movk_i32 s2, 0x3000
	s_nop 0
	v_add_co_u32_e64 v70, s[2:3], s2, v48
	global_load_dwordx4 v[32:35], v[50:51], off offset:768
	global_load_dwordx4 v[36:39], v[50:51], off offset:1888
	v_addc_co_u32_e64 v71, s[2:3], 0, v49, s[2:3]
	s_movk_i32 s2, 0x4000
	s_nop 0
	v_add_co_u32_e64 v72, s[2:3], s2, v48
	global_load_dwordx4 v[40:43], v[50:51], off offset:3008
	global_load_dwordx4 v[44:47], v[70:71], off offset:32
	v_addc_co_u32_e64 v73, s[2:3], 0, v49, s[2:3]
	global_load_dwordx4 v[60:63], v[70:71], off offset:1152
	global_load_dwordx4 v[56:59], v[70:71], off offset:2272
	;; [unrolled: 1-line block ×5, first 2 shown]
.LBB0_10:
	s_or_b64 exec, exec, s[6:7]
	s_mov_b32 s2, 0xaaaaaaab
	v_mul_hi_u32 v69, v68, s2
	v_lshrrev_b32_e32 v69, 1, v69
	v_lshl_add_u32 v69, v69, 1, v69
	s_mov_b32 s14, 0x7c9e640b
	v_sub_u32_e32 v97, v68, v69
	s_waitcnt vmcnt(0)
	v_add_f64 v[68:69], v[6:7], -v[66:67]
	s_mov_b32 s2, 0x2b2883cd
	s_mov_b32 s15, 0xbfeca52d
	v_add_f64 v[72:73], v[64:65], v[4:5]
	s_mov_b32 s3, 0x3fdc86fa
	v_mul_f64 v[106:107], v[68:69], s[14:15]
	v_fma_f64 v[70:71], v[72:73], s[2:3], -v[106:107]
	s_mov_b32 s18, 0x6c9a05f6
	v_add_f64 v[74:75], v[0:1], v[70:71]
	s_mov_b32 s6, 0x6ed5f1bb
	s_mov_b32 s19, 0xbfe9895b
	v_add_f64 v[70:71], v[10:11], -v[54:55]
	s_mov_b32 s7, 0xbfe348c8
	v_add_f64 v[76:77], v[52:53], v[8:9]
	v_mul_f64 v[110:111], v[70:71], s[18:19]
	v_fma_f64 v[78:79], v[76:77], s[6:7], -v[110:111]
	s_mov_b32 s22, 0xacd6c6b4
	v_add_f64 v[78:79], v[78:79], v[74:75]
	s_mov_b32 s8, 0x7faef3
	s_mov_b32 s23, 0x3fc7851a
	v_add_f64 v[74:75], v[14:15], -v[50:51]
	s_mov_b32 s9, 0xbfef7484
	v_add_f64 v[80:81], v[48:49], v[12:13]
	;; [unrolled: 9-line block ×7, first 2 shown]
	v_mul_f64 v[128:129], v[102:103], s[36:37]
	v_fma_f64 v[108:109], v[104:105], s[26:27], -v[128:129]
	v_mul_u32_u24_e32 v97, 0x4a6, v97
	v_add_f64 v[100:101], v[108:109], v[100:101]
	v_lshlrev_b32_e32 v97, 3, v97
	s_and_saveexec_b64 s[38:39], s[0:1]
	s_cbranch_execz .LBB0_12
; %bb.11:
	v_mul_f64 v[114:115], v[72:73], s[8:9]
	v_fma_f64 v[108:109], s[22:23], v[68:69], v[114:115]
	v_mul_f64 v[120:121], v[76:77], s[16:17]
	v_add_f64 v[108:109], v[0:1], v[108:109]
	v_fma_f64 v[126:127], s[30:31], v[70:71], v[120:121]
	v_add_f64 v[108:109], v[126:127], v[108:109]
	s_mov_b32 s43, 0x3fe0d888
	s_mov_b32 s42, s36
	v_mul_f64 v[126:127], v[80:81], s[26:27]
	s_mov_b32 s47, 0xbfc7851a
	s_mov_b32 s46, s22
	v_fma_f64 v[130:131], s[42:43], v[74:75], v[126:127]
	s_mov_b32 s51, 0x3fd71e95
	s_mov_b32 s50, s30
	v_fmac_f64_e32 v[114:115], s[46:47], v[68:69]
	v_add_f64 v[108:109], v[130:131], v[108:109]
	s_mov_b32 s41, 0xbfe58eea
	s_mov_b32 s40, s28
	v_mul_f64 v[130:131], v[84:85], s[12:13]
	v_fmac_f64_e32 v[120:121], s[50:51], v[70:71]
	v_add_f64 v[114:115], v[0:1], v[114:115]
	v_fma_f64 v[132:133], s[40:41], v[78:79], v[130:131]
	v_add_f64 v[114:115], v[120:121], v[114:115]
	v_fmac_f64_e32 v[126:127], s[36:37], v[74:75]
	v_add_f64 v[108:109], v[132:133], v[108:109]
	s_mov_b32 s45, 0x3fe9895b
	s_mov_b32 s44, s18
	v_mul_f64 v[132:133], v[86:87], s[6:7]
	v_add_f64 v[114:115], v[126:127], v[114:115]
	v_fmac_f64_e32 v[130:131], s[28:29], v[78:79]
	v_mul_f64 v[126:127], v[72:73], s[26:27]
	v_fma_f64 v[134:135], s[44:45], v[82:83], v[132:133]
	v_add_f64 v[114:115], v[130:131], v[114:115]
	v_fmac_f64_e32 v[132:133], s[18:19], v[82:83]
	v_fma_f64 v[120:121], s[42:43], v[68:69], v[126:127]
	v_mul_f64 v[130:131], v[76:77], s[2:3]
	v_add_f64 v[108:109], v[134:135], v[108:109]
	v_mul_f64 v[134:135], v[90:91], s[2:3]
	v_add_f64 v[114:115], v[132:133], v[114:115]
	s_mov_b32 s53, 0x3feca52d
	s_mov_b32 s52, s14
	v_add_f64 v[120:121], v[0:1], v[120:121]
	v_fma_f64 v[132:133], s[14:15], v[70:71], v[130:131]
	v_fma_f64 v[136:137], s[14:15], v[88:89], v[134:135]
	v_fmac_f64_e32 v[134:135], s[52:53], v[88:89]
	s_mov_b32 s55, 0x3fefdd0d
	s_mov_b32 s54, s34
	v_add_f64 v[120:121], v[132:133], v[120:121]
	v_mul_f64 v[132:133], v[80:81], s[20:21]
	v_add_f64 v[108:109], v[136:137], v[108:109]
	v_mul_f64 v[136:137], v[94:95], s[10:11]
	v_add_f64 v[114:115], v[134:135], v[114:115]
	s_mov_b32 s49, 0xbfeec746
	s_mov_b32 s48, s24
	v_fma_f64 v[134:135], s[54:55], v[74:75], v[132:133]
	v_fmac_f64_e32 v[126:127], s[36:37], v[68:69]
	v_fma_f64 v[138:139], s[24:25], v[92:93], v[136:137]
	v_fmac_f64_e32 v[136:137], s[48:49], v[92:93]
	v_add_f64 v[120:121], v[134:135], v[120:121]
	v_mul_f64 v[134:135], v[84:85], s[6:7]
	v_fmac_f64_e32 v[130:131], s[52:53], v[70:71]
	v_add_f64 v[126:127], v[0:1], v[126:127]
	v_add_f64 v[108:109], v[138:139], v[108:109]
	v_mul_f64 v[138:139], v[104:105], s[20:21]
	v_add_f64 v[114:115], v[136:137], v[114:115]
	v_fma_f64 v[136:137], s[18:19], v[78:79], v[134:135]
	v_add_f64 v[126:127], v[130:131], v[126:127]
	v_fmac_f64_e32 v[132:133], s[34:35], v[74:75]
	v_fma_f64 v[140:141], s[34:35], v[102:103], v[138:139]
	v_fmac_f64_e32 v[138:139], s[54:55], v[102:103]
	v_add_f64 v[120:121], v[136:137], v[120:121]
	v_mul_f64 v[136:137], v[86:87], s[16:17]
	v_add_f64 v[126:127], v[132:133], v[126:127]
	v_fmac_f64_e32 v[134:135], s[44:45], v[78:79]
	v_mul_f64 v[132:133], v[72:73], s[6:7]
	v_add_f64 v[114:115], v[138:139], v[114:115]
	v_fma_f64 v[138:139], s[50:51], v[82:83], v[136:137]
	v_add_f64 v[126:127], v[134:135], v[126:127]
	v_fmac_f64_e32 v[136:137], s[30:31], v[82:83]
	v_fma_f64 v[130:131], s[44:45], v[68:69], v[132:133]
	v_mul_f64 v[134:135], v[76:77], s[10:11]
	v_add_f64 v[120:121], v[138:139], v[120:121]
	v_mul_f64 v[138:139], v[90:91], s[8:9]
	v_add_f64 v[126:127], v[136:137], v[126:127]
	v_add_f64 v[130:131], v[0:1], v[130:131]
	v_fma_f64 v[136:137], s[48:49], v[70:71], v[134:135]
	v_add_f64 v[108:109], v[140:141], v[108:109]
	v_fma_f64 v[140:141], s[22:23], v[88:89], v[138:139]
	v_fmac_f64_e32 v[138:139], s[46:47], v[88:89]
	v_add_f64 v[130:131], v[136:137], v[130:131]
	v_mul_f64 v[136:137], v[80:81], s[16:17]
	v_add_f64 v[120:121], v[140:141], v[120:121]
	v_mul_f64 v[140:141], v[94:95], s[12:13]
	v_add_f64 v[126:127], v[138:139], v[126:127]
	v_fma_f64 v[138:139], s[50:51], v[74:75], v[136:137]
	v_fmac_f64_e32 v[132:133], s[18:19], v[68:69]
	v_fma_f64 v[142:143], s[40:41], v[92:93], v[140:141]
	v_fmac_f64_e32 v[140:141], s[28:29], v[92:93]
	v_add_f64 v[130:131], v[138:139], v[130:131]
	v_mul_f64 v[138:139], v[84:85], s[26:27]
	v_fmac_f64_e32 v[134:135], s[24:25], v[70:71]
	v_add_f64 v[132:133], v[0:1], v[132:133]
	v_add_f64 v[120:121], v[142:143], v[120:121]
	v_mul_f64 v[142:143], v[104:105], s[10:11]
	v_add_f64 v[126:127], v[140:141], v[126:127]
	v_fma_f64 v[140:141], s[42:43], v[78:79], v[138:139]
	v_add_f64 v[132:133], v[134:135], v[132:133]
	v_fmac_f64_e32 v[136:137], s[30:31], v[74:75]
	v_fma_f64 v[144:145], s[24:25], v[102:103], v[142:143]
	v_fmac_f64_e32 v[142:143], s[48:49], v[102:103]
	v_add_f64 v[130:131], v[140:141], v[130:131]
	v_mul_f64 v[140:141], v[86:87], s[20:21]
	v_add_f64 v[132:133], v[136:137], v[132:133]
	v_fmac_f64_e32 v[138:139], s[36:37], v[78:79]
	v_mul_f64 v[136:137], v[72:73], s[10:11]
	v_add_f64 v[126:127], v[142:143], v[126:127]
	v_fma_f64 v[142:143], s[34:35], v[82:83], v[140:141]
	v_add_f64 v[132:133], v[138:139], v[132:133]
	v_fmac_f64_e32 v[140:141], s[54:55], v[82:83]
	v_fma_f64 v[134:135], s[24:25], v[68:69], v[136:137]
	v_mul_f64 v[138:139], v[76:77], s[26:27]
	v_add_f64 v[130:131], v[142:143], v[130:131]
	v_mul_f64 v[142:143], v[90:91], s[12:13]
	v_add_f64 v[132:133], v[140:141], v[132:133]
	v_add_f64 v[134:135], v[0:1], v[134:135]
	v_fma_f64 v[140:141], s[36:37], v[70:71], v[138:139]
	v_add_f64 v[120:121], v[144:145], v[120:121]
	v_fma_f64 v[144:145], s[28:29], v[88:89], v[142:143]
	v_fmac_f64_e32 v[142:143], s[40:41], v[88:89]
	v_add_f64 v[134:135], v[140:141], v[134:135]
	v_mul_f64 v[140:141], v[80:81], s[12:13]
	v_add_f64 v[130:131], v[144:145], v[130:131]
	v_mul_f64 v[144:145], v[94:95], s[8:9]
	v_add_f64 v[132:133], v[142:143], v[132:133]
	v_fma_f64 v[142:143], s[40:41], v[74:75], v[140:141]
	v_fmac_f64_e32 v[136:137], s[48:49], v[68:69]
	v_fma_f64 v[146:147], s[22:23], v[92:93], v[144:145]
	v_fmac_f64_e32 v[144:145], s[46:47], v[92:93]
	v_add_f64 v[134:135], v[142:143], v[134:135]
	v_mul_f64 v[142:143], v[84:85], s[2:3]
	v_fmac_f64_e32 v[138:139], s[42:43], v[70:71]
	v_add_f64 v[136:137], v[0:1], v[136:137]
	v_add_f64 v[130:131], v[146:147], v[130:131]
	v_mul_f64 v[146:147], v[104:105], s[2:3]
	v_add_f64 v[132:133], v[144:145], v[132:133]
	v_fma_f64 v[144:145], s[52:53], v[78:79], v[142:143]
	v_add_f64 v[136:137], v[138:139], v[136:137]
	v_fmac_f64_e32 v[140:141], s[28:29], v[74:75]
	v_fma_f64 v[148:149], s[14:15], v[102:103], v[146:147]
	v_fmac_f64_e32 v[146:147], s[52:53], v[102:103]
	v_add_f64 v[134:135], v[144:145], v[134:135]
	v_mul_f64 v[144:145], v[86:87], s[8:9]
	v_add_f64 v[136:137], v[140:141], v[136:137]
	v_fmac_f64_e32 v[142:143], s[14:15], v[78:79]
	v_mul_f64 v[138:139], v[72:73], s[20:21]
	v_add_f64 v[132:133], v[146:147], v[132:133]
	v_fma_f64 v[146:147], s[22:23], v[82:83], v[144:145]
	v_add_f64 v[136:137], v[142:143], v[136:137]
	v_fmac_f64_e32 v[144:145], s[46:47], v[82:83]
	v_fma_f64 v[140:141], s[54:55], v[68:69], v[138:139]
	v_mul_f64 v[142:143], v[76:77], s[8:9]
	v_fmac_f64_e32 v[138:139], s[34:35], v[68:69]
	v_add_f64 v[136:137], v[144:145], v[136:137]
	v_fma_f64 v[144:145], s[22:23], v[70:71], v[142:143]
	v_fmac_f64_e32 v[142:143], s[46:47], v[70:71]
	v_add_f64 v[138:139], v[0:1], v[138:139]
	v_add_f64 v[138:139], v[142:143], v[138:139]
	v_mul_f64 v[142:143], v[104:105], s[26:27]
	v_add_f64 v[128:129], v[128:129], v[142:143]
	v_mul_f64 v[142:143], v[94:95], s[20:21]
	;; [unrolled: 2-line block ×8, first 2 shown]
	v_add_f64 v[106:107], v[106:107], v[142:143]
	v_add_f64 v[106:107], v[0:1], v[106:107]
	;; [unrolled: 1-line block ×4, first 2 shown]
	v_mul_f64 v[110:111], v[72:73], s[12:13]
	v_add_f64 v[106:107], v[116:117], v[106:107]
	v_fma_f64 v[112:113], s[28:29], v[68:69], v[110:111]
	v_mul_f64 v[116:117], v[76:77], s[20:21]
	v_fmac_f64_e32 v[110:111], s[40:41], v[68:69]
	v_add_f64 v[106:107], v[118:119], v[106:107]
	v_fma_f64 v[118:119], s[54:55], v[70:71], v[116:117]
	v_fmac_f64_e32 v[116:117], s[34:35], v[70:71]
	v_add_f64 v[110:111], v[0:1], v[110:111]
	v_mul_f64 v[72:73], v[72:73], s[16:17]
	v_add_f64 v[110:111], v[116:117], v[110:111]
	v_fma_f64 v[116:117], s[50:51], v[68:69], v[72:73]
	v_fmac_f64_e32 v[72:73], s[30:31], v[68:69]
	v_add_f64 v[140:141], v[0:1], v[140:141]
	v_add_f64 v[112:113], v[0:1], v[112:113]
	;; [unrolled: 1-line block ×7, first 2 shown]
	v_mul_f64 v[146:147], v[90:91], s[20:21]
	v_add_f64 v[0:1], v[12:13], v[0:1]
	v_add_f64 v[130:131], v[148:149], v[130:131]
	v_fma_f64 v[148:149], s[34:35], v[88:89], v[146:147]
	v_fmac_f64_e32 v[146:147], s[54:55], v[88:89]
	v_add_f64 v[140:141], v[144:145], v[140:141]
	v_mul_f64 v[144:145], v[80:81], s[10:11]
	v_add_f64 v[112:113], v[118:119], v[112:113]
	v_mul_f64 v[118:119], v[80:81], s[6:7]
	v_add_f64 v[0:1], v[16:17], v[0:1]
	v_add_f64 v[134:135], v[148:149], v[134:135]
	v_mul_f64 v[148:149], v[94:95], s[16:17]
	v_add_f64 v[136:137], v[146:147], v[136:137]
	v_fma_f64 v[146:147], s[48:49], v[74:75], v[144:145]
	v_add_f64 v[106:107], v[122:123], v[106:107]
	v_fma_f64 v[122:123], s[44:45], v[74:75], v[118:119]
	;; [unrolled: 2-line block ×3, first 2 shown]
	v_fmac_f64_e32 v[148:149], s[30:31], v[92:93]
	v_add_f64 v[140:141], v[146:147], v[140:141]
	v_mul_f64 v[146:147], v[84:85], s[16:17]
	v_add_f64 v[112:113], v[122:123], v[112:113]
	v_mul_f64 v[122:123], v[84:85], s[8:9]
	v_add_f64 v[0:1], v[24:25], v[0:1]
	v_add_f64 v[134:135], v[150:151], v[134:135]
	v_mul_f64 v[150:151], v[104:105], s[6:7]
	v_add_f64 v[136:137], v[148:149], v[136:137]
	v_fma_f64 v[148:149], s[30:31], v[78:79], v[146:147]
	v_add_f64 v[106:107], v[124:125], v[106:107]
	v_fma_f64 v[124:125], s[22:23], v[78:79], v[122:123]
	;; [unrolled: 2-line block ×3, first 2 shown]
	v_fmac_f64_e32 v[150:151], s[18:19], v[102:103]
	v_add_f64 v[140:141], v[148:149], v[140:141]
	v_mul_f64 v[148:149], v[86:87], s[2:3]
	v_add_f64 v[112:113], v[124:125], v[112:113]
	v_mul_f64 v[124:125], v[86:87], s[26:27]
	v_fmac_f64_e32 v[118:119], s[18:19], v[74:75]
	v_mul_f64 v[76:77], v[76:77], s[12:13]
	v_add_f64 v[0:1], v[32:33], v[0:1]
	v_add_f64 v[136:137], v[150:151], v[136:137]
	v_fma_f64 v[150:151], s[52:53], v[82:83], v[148:149]
	v_add_f64 v[106:107], v[128:129], v[106:107]
	v_fma_f64 v[128:129], s[36:37], v[82:83], v[124:125]
	;; [unrolled: 2-line block ×3, first 2 shown]
	v_mul_f64 v[80:81], v[80:81], s[2:3]
	v_fmac_f64_e32 v[76:77], s[40:41], v[70:71]
	v_add_f64 v[0:1], v[36:37], v[0:1]
	v_add_f64 v[140:141], v[150:151], v[140:141]
	v_mul_f64 v[150:151], v[90:91], s[26:27]
	v_add_f64 v[112:113], v[128:129], v[112:113]
	v_mul_f64 v[128:129], v[90:91], s[10:11]
	v_add_f64 v[116:117], v[118:119], v[116:117]
	v_fma_f64 v[118:119], s[52:53], v[74:75], v[80:81]
	v_mul_f64 v[84:85], v[84:85], s[20:21]
	v_fmac_f64_e32 v[80:81], s[14:15], v[74:75]
	v_add_f64 v[68:69], v[76:77], v[68:69]
	v_add_f64 v[0:1], v[40:41], v[0:1]
	;; [unrolled: 1-line block ×3, first 2 shown]
	v_fma_f64 v[152:153], s[42:43], v[88:89], v[150:151]
	v_fmac_f64_e32 v[144:145], s[24:25], v[74:75]
	v_fma_f64 v[142:143], s[48:49], v[88:89], v[128:129]
	v_add_f64 v[116:117], v[118:119], v[116:117]
	v_fma_f64 v[118:119], s[54:55], v[78:79], v[84:85]
	v_mul_f64 v[86:87], v[86:87], s[10:11]
	v_fmac_f64_e32 v[84:85], s[34:35], v[78:79]
	v_add_f64 v[68:69], v[80:81], v[68:69]
	v_add_f64 v[0:1], v[44:45], v[0:1]
	;; [unrolled: 1-line block ×3, first 2 shown]
	v_mul_f64 v[152:153], v[94:95], s[6:7]
	v_add_f64 v[138:139], v[144:145], v[138:139]
	v_fmac_f64_e32 v[146:147], s[50:51], v[78:79]
	v_add_f64 v[112:113], v[142:143], v[112:113]
	v_mul_f64 v[142:143], v[94:95], s[2:3]
	v_fmac_f64_e32 v[122:123], s[46:47], v[78:79]
	v_add_f64 v[116:117], v[118:119], v[116:117]
	v_fma_f64 v[118:119], s[24:25], v[82:83], v[86:87]
	v_mul_f64 v[90:91], v[90:91], s[6:7]
	v_fmac_f64_e32 v[86:87], s[48:49], v[82:83]
	v_add_f64 v[68:69], v[84:85], v[68:69]
	v_add_f64 v[0:1], v[60:61], v[0:1]
	v_fma_f64 v[154:155], s[18:19], v[92:93], v[152:153]
	v_add_f64 v[138:139], v[146:147], v[138:139]
	v_fmac_f64_e32 v[148:149], s[14:15], v[82:83]
	v_fma_f64 v[144:145], s[14:15], v[92:93], v[142:143]
	v_add_f64 v[110:111], v[122:123], v[110:111]
	v_fmac_f64_e32 v[124:125], s[42:43], v[82:83]
	v_add_f64 v[116:117], v[118:119], v[116:117]
	v_fma_f64 v[118:119], s[44:45], v[88:89], v[90:91]
	v_mul_f64 v[94:95], v[94:95], s[26:27]
	v_fmac_f64_e32 v[90:91], s[18:19], v[88:89]
	v_add_f64 v[68:69], v[86:87], v[68:69]
	v_add_f64 v[0:1], v[56:57], v[0:1]
	;; [unrolled: 1-line block ×3, first 2 shown]
	v_mul_f64 v[154:155], v[104:105], s[12:13]
	v_add_f64 v[138:139], v[148:149], v[138:139]
	v_fmac_f64_e32 v[150:151], s[36:37], v[88:89]
	v_add_f64 v[112:113], v[144:145], v[112:113]
	v_mul_f64 v[144:145], v[104:105], s[16:17]
	v_add_f64 v[110:111], v[124:125], v[110:111]
	v_fmac_f64_e32 v[128:129], s[24:25], v[88:89]
	v_add_f64 v[116:117], v[118:119], v[116:117]
	v_fma_f64 v[118:119], s[42:43], v[92:93], v[94:95]
	v_mul_f64 v[104:105], v[104:105], s[8:9]
	v_fmac_f64_e32 v[94:95], s[36:37], v[92:93]
	v_add_f64 v[68:69], v[90:91], v[68:69]
	v_add_f64 v[0:1], v[48:49], v[0:1]
	;; [unrolled: 1-line block ×3, first 2 shown]
	v_fmac_f64_e32 v[152:153], s[44:45], v[92:93]
	v_add_f64 v[110:111], v[128:129], v[110:111]
	v_fmac_f64_e32 v[142:143], s[52:53], v[92:93]
	v_add_f64 v[116:117], v[118:119], v[116:117]
	v_fma_f64 v[118:119], s[22:23], v[102:103], v[104:105]
	v_fmac_f64_e32 v[104:105], s[46:47], v[102:103]
	v_add_f64 v[68:69], v[94:95], v[68:69]
	v_add_f64 v[0:1], v[52:53], v[0:1]
	v_mul_u32_u24_e32 v70, 0x88, v96
	v_fma_f64 v[156:157], s[40:41], v[102:103], v[154:155]
	v_add_f64 v[138:139], v[152:153], v[138:139]
	v_fmac_f64_e32 v[154:155], s[28:29], v[102:103]
	v_fma_f64 v[146:147], s[30:31], v[102:103], v[144:145]
	v_add_f64 v[110:111], v[142:143], v[110:111]
	v_fmac_f64_e32 v[144:145], s[50:51], v[102:103]
	v_add_f64 v[68:69], v[104:105], v[68:69]
	v_add_f64 v[0:1], v[64:65], v[0:1]
	v_add3_u32 v70, 0, v70, v97
	v_add_f64 v[140:141], v[156:157], v[140:141]
	v_add_f64 v[138:139], v[154:155], v[138:139]
	;; [unrolled: 1-line block ×5, first 2 shown]
	ds_write2_b64 v70, v[0:1], v[68:69] offset1:1
	ds_write2_b64 v70, v[110:111], v[106:107] offset0:2 offset1:3
	ds_write2_b64 v70, v[138:139], v[136:137] offset0:4 offset1:5
	;; [unrolled: 1-line block ×7, first 2 shown]
	ds_write_b64 v70, v[116:117] offset:128
.LBB0_12:
	s_or_b64 exec, exec, s[38:39]
	v_add_f64 v[124:125], v[4:5], -v[64:65]
	v_add_f64 v[122:123], v[66:67], v[6:7]
	v_mul_f64 v[126:127], v[124:125], s[14:15]
	v_add_f64 v[116:117], v[8:9], -v[52:53]
	v_fma_f64 v[0:1], s[2:3], v[122:123], v[126:127]
	v_add_f64 v[114:115], v[54:55], v[10:11]
	v_mul_f64 v[120:121], v[116:117], s[18:19]
	v_add_f64 v[108:109], v[12:13], -v[48:49]
	v_add_f64 v[0:1], v[2:3], v[0:1]
	v_fma_f64 v[4:5], s[6:7], v[114:115], v[120:121]
	v_add_f64 v[106:107], v[50:51], v[14:15]
	v_mul_f64 v[112:113], v[108:109], s[22:23]
	v_add_f64 v[92:93], v[16:17], -v[56:57]
	v_add_f64 v[0:1], v[4:5], v[0:1]
	;; [unrolled: 5-line block ×3, first 2 shown]
	v_fma_f64 v[4:5], s[10:11], v[90:91], v[104:105]
	v_add_f64 v[64:65], v[62:63], v[22:23]
	v_mul_f64 v[88:89], v[60:61], s[28:29]
	v_add_f64 v[52:53], v[24:25], -v[44:45]
	v_lshlrev_b32_e32 v9, 3, v96
	v_add_f64 v[0:1], v[4:5], v[0:1]
	v_fma_f64 v[4:5], s[12:13], v[64:65], v[88:89]
	v_add_f64 v[48:49], v[46:47], v[26:27]
	v_mul_f64 v[56:57], v[52:53], s[30:31]
	v_add_f64 v[28:29], v[28:29], -v[40:41]
	v_add_u32_e32 v138, 0, v9
	v_add_f64 v[0:1], v[4:5], v[0:1]
	v_fma_f64 v[4:5], s[16:17], v[48:49], v[56:57]
	v_add_f64 v[44:45], v[42:43], v[30:31]
	v_mul_f64 v[40:41], v[28:29], s[34:35]
	v_add_u32_e32 v8, 0, v97
	v_add_u32_e32 v129, v138, v97
	;; [unrolled: 1-line block ×3, first 2 shown]
	v_add_f64 v[0:1], v[4:5], v[0:1]
	v_fma_f64 v[4:5], s[20:21], v[44:45], v[40:41]
	v_add_u32_e32 v128, v8, v9
	v_add_u32_e32 v132, 0x1000, v129
	;; [unrolled: 1-line block ×6, first 2 shown]
	v_lshl_add_u32 v131, v136, 3, v8
	v_add_f64 v[94:95], v[4:5], v[0:1]
	s_waitcnt lgkmcnt(0)
	s_barrier
	ds_read_b64 v[4:5], v128
	ds_read2_b64 v[72:75], v132 offset0:83 offset1:168
	ds_read2_b64 v[80:83], v129 offset0:85 offset1:170
	;; [unrolled: 1-line block ×3, first 2 shown]
	ds_read2_b64 v[84:87], v135 offset1:255
	v_lshl_add_u32 v130, v137, 3, v8
	ds_read2_b64 v[76:79], v133 offset0:167 offset1:252
	ds_read_b64 v[8:9], v131
	ds_read_b64 v[12:13], v130
	ds_read_b64 v[24:25], v129 offset:8840
	v_add_f64 v[16:17], v[32:33], -v[36:37]
	v_add_f64 v[0:1], v[38:39], v[34:35]
	v_mul_f64 v[20:21], v[16:17], s[36:37]
	v_fma_f64 v[32:33], s[26:27], v[0:1], v[20:21]
	v_add_f64 v[102:103], v[32:33], v[94:95]
	s_waitcnt lgkmcnt(0)
	s_barrier
	s_and_saveexec_b64 s[14:15], s[0:1]
	s_cbranch_execz .LBB0_14
; %bb.13:
	v_add_f64 v[6:7], v[6:7], v[2:3]
	v_add_f64 v[6:7], v[10:11], v[6:7]
	;; [unrolled: 1-line block ×12, first 2 shown]
	v_mul_f64 v[118:119], v[90:91], s[10:11]
	v_mul_f64 v[94:95], v[48:49], s[16:17]
	v_add_f64 v[6:7], v[58:59], v[6:7]
	s_mov_b32 s16, 0x5d8e7cdc
	s_mov_b32 s22, 0x2a9d6da3
	;; [unrolled: 1-line block ×5, first 2 shown]
	v_mul_f64 v[140:141], v[122:123], s[2:3]
	v_mul_f64 v[142:143], v[114:115], s[6:7]
	;; [unrolled: 1-line block ×6, first 2 shown]
	v_add_f64 v[6:7], v[50:51], v[6:7]
	s_mov_b32 s17, 0xbfd71e95
	s_mov_b32 s6, 0x370991
	;; [unrolled: 1-line block ×14, first 2 shown]
	v_add_f64 v[6:7], v[54:55], v[6:7]
	v_mul_f64 v[10:11], v[124:125], s[16:17]
	s_mov_b32 s7, 0x3fedd6d0
	v_mul_f64 v[18:19], v[124:125], s[22:23]
	s_mov_b32 s9, 0x3fe7a5f6
	;; [unrolled: 2-line block ×7, first 2 shown]
	v_add_f64 v[6:7], v[66:67], v[6:7]
	v_fma_f64 v[14:15], v[122:123], s[6:7], -v[10:11]
	v_fmac_f64_e32 v[10:11], s[6:7], v[122:123]
	v_fma_f64 v[22:23], v[122:123], s[8:9], -v[18:19]
	v_fmac_f64_e32 v[18:19], s[8:9], v[122:123]
	v_add_f64 v[26:27], v[140:141], -v[126:127]
	v_fma_f64 v[34:35], v[122:123], s[0:1], -v[30:31]
	v_fmac_f64_e32 v[30:31], s[0:1], v[122:123]
	v_fma_f64 v[42:43], v[122:123], s[12:13], -v[38:39]
	v_fmac_f64_e32 v[38:39], s[12:13], v[122:123]
	;; [unrolled: 2-line block ×5, first 2 shown]
	v_add_f64 v[14:15], v[2:3], v[14:15]
	v_add_f64 v[10:11], v[2:3], v[10:11]
	;; [unrolled: 1-line block ×15, first 2 shown]
	v_mul_f64 v[62:63], v[116:117], s[22:23]
	v_fma_f64 v[122:123], v[114:115], s[8:9], -v[62:63]
	v_fmac_f64_e32 v[62:63], s[8:9], v[114:115]
	v_add_f64 v[10:11], v[62:63], v[10:11]
	v_mul_f64 v[62:63], v[116:117], s[2:3]
	v_add_f64 v[14:15], v[122:123], v[14:15]
	v_fma_f64 v[122:123], v[114:115], s[0:1], -v[62:63]
	v_fmac_f64_e32 v[62:63], s[0:1], v[114:115]
	v_add_f64 v[18:19], v[62:63], v[18:19]
	v_add_f64 v[62:63], v[142:143], -v[120:121]
	v_add_f64 v[26:27], v[62:63], v[26:27]
	v_mul_f64 v[62:63], v[116:117], s[24:25]
	v_fma_f64 v[120:121], v[114:115], s[26:27], -v[62:63]
	v_fmac_f64_e32 v[62:63], s[26:27], v[114:115]
	s_mov_b32 s45, 0x3fe0d888
	s_mov_b32 s44, s34
	v_add_f64 v[30:31], v[62:63], v[30:31]
	v_mul_f64 v[62:63], v[116:117], s[44:45]
	v_add_f64 v[34:35], v[120:121], v[34:35]
	v_fma_f64 v[120:121], v[114:115], s[36:37], -v[62:63]
	v_fmac_f64_e32 v[62:63], s[36:37], v[114:115]
	s_mov_b32 s43, 0x3feec746
	s_mov_b32 s42, s10
	v_add_f64 v[38:39], v[62:63], v[38:39]
	v_mul_f64 v[62:63], v[116:117], s[42:43]
	s_mov_b32 s28, 0x7c9e640b
	v_add_f64 v[42:43], v[120:121], v[42:43]
	v_fma_f64 v[120:121], v[114:115], s[12:13], -v[62:63]
	v_fmac_f64_e32 v[62:63], s[12:13], v[114:115]
	s_mov_b32 s29, 0x3feca52d
	s_mov_b32 s30, 0x2b2883cd
	v_add_f64 v[46:47], v[62:63], v[46:47]
	v_mul_f64 v[62:63], v[116:117], s[28:29]
	s_mov_b32 s31, 0x3fdc86fa
	v_add_f64 v[50:51], v[120:121], v[50:51]
	v_fma_f64 v[120:121], v[114:115], s[30:31], -v[62:63]
	v_fmac_f64_e32 v[62:63], s[30:31], v[114:115]
	s_mov_b32 s39, 0x3fd71e95
	s_mov_b32 s38, s16
	v_add_f64 v[54:55], v[62:63], v[54:55]
	v_mul_f64 v[62:63], v[116:117], s[38:39]
	v_fma_f64 v[116:117], v[114:115], s[6:7], -v[62:63]
	v_fmac_f64_e32 v[62:63], s[6:7], v[114:115]
	s_mov_b32 s49, 0xbfeca52d
	s_mov_b32 s48, s28
	v_add_f64 v[2:3], v[62:63], v[2:3]
	v_mul_f64 v[62:63], v[108:109], s[48:49]
	v_fma_f64 v[114:115], v[106:107], s[30:31], -v[62:63]
	v_fmac_f64_e32 v[62:63], s[30:31], v[106:107]
	v_add_f64 v[10:11], v[62:63], v[10:11]
	v_mul_f64 v[62:63], v[108:109], s[18:19]
	v_add_f64 v[14:15], v[114:115], v[14:15]
	v_fma_f64 v[114:115], v[106:107], s[20:21], -v[62:63]
	v_fmac_f64_e32 v[62:63], s[20:21], v[106:107]
	v_add_f64 v[18:19], v[62:63], v[18:19]
	v_add_f64 v[62:63], v[144:145], -v[112:113]
	v_add_f64 v[26:27], v[62:63], v[26:27]
	v_mul_f64 v[62:63], v[108:109], s[42:43]
	v_fma_f64 v[112:113], v[106:107], s[12:13], -v[62:63]
	v_fmac_f64_e32 v[62:63], s[12:13], v[106:107]
	s_mov_b32 s41, 0x3fe58eea
	s_mov_b32 s40, s22
	v_add_f64 v[30:31], v[62:63], v[30:31]
	v_mul_f64 v[62:63], v[108:109], s[40:41]
	v_add_f64 v[34:35], v[112:113], v[34:35]
	v_fma_f64 v[112:113], v[106:107], s[8:9], -v[62:63]
	v_fmac_f64_e32 v[62:63], s[8:9], v[106:107]
	v_add_f64 v[38:39], v[62:63], v[38:39]
	v_mul_f64 v[62:63], v[108:109], s[16:17]
	v_add_f64 v[42:43], v[112:113], v[42:43]
	v_fma_f64 v[112:113], v[106:107], s[6:7], -v[62:63]
	v_fmac_f64_e32 v[62:63], s[6:7], v[106:107]
	;; [unrolled: 5-line block ×3, first 2 shown]
	v_add_f64 v[54:55], v[62:63], v[54:55]
	v_mul_f64 v[62:63], v[108:109], s[34:35]
	v_fma_f64 v[108:109], v[106:107], s[36:37], -v[62:63]
	v_fmac_f64_e32 v[62:63], s[36:37], v[106:107]
	v_add_f64 v[2:3], v[62:63], v[2:3]
	v_mul_f64 v[62:63], v[92:93], s[2:3]
	v_fma_f64 v[106:107], v[90:91], s[0:1], -v[62:63]
	v_fmac_f64_e32 v[62:63], s[0:1], v[90:91]
	v_add_f64 v[10:11], v[62:63], v[10:11]
	v_mul_f64 v[62:63], v[92:93], s[24:25]
	v_add_f64 v[14:15], v[106:107], v[14:15]
	v_fma_f64 v[106:107], v[90:91], s[26:27], -v[62:63]
	v_fmac_f64_e32 v[62:63], s[26:27], v[90:91]
	v_add_f64 v[18:19], v[62:63], v[18:19]
	v_add_f64 v[62:63], v[118:119], -v[104:105]
	v_add_f64 v[26:27], v[62:63], v[26:27]
	v_mul_f64 v[62:63], v[92:93], s[38:39]
	v_fma_f64 v[104:105], v[90:91], s[6:7], -v[62:63]
	v_fmac_f64_e32 v[62:63], s[6:7], v[90:91]
	v_add_f64 v[30:31], v[62:63], v[30:31]
	v_mul_f64 v[62:63], v[92:93], s[48:49]
	v_add_f64 v[34:35], v[104:105], v[34:35]
	v_fma_f64 v[104:105], v[90:91], s[30:31], -v[62:63]
	v_fmac_f64_e32 v[62:63], s[30:31], v[90:91]
	v_add_f64 v[38:39], v[62:63], v[38:39]
	v_mul_f64 v[62:63], v[92:93], s[34:35]
	v_add_f64 v[42:43], v[104:105], v[42:43]
	v_fma_f64 v[104:105], v[90:91], s[36:37], -v[62:63]
	v_fmac_f64_e32 v[62:63], s[36:37], v[90:91]
	s_mov_b32 s47, 0x3fe9895b
	s_mov_b32 s46, s18
	v_add_f64 v[46:47], v[62:63], v[46:47]
	v_mul_f64 v[62:63], v[92:93], s[46:47]
	v_add_f64 v[50:51], v[104:105], v[50:51]
	v_fma_f64 v[104:105], v[90:91], s[20:21], -v[62:63]
	v_fmac_f64_e32 v[62:63], s[20:21], v[90:91]
	v_add_f64 v[54:55], v[62:63], v[54:55]
	v_mul_f64 v[62:63], v[92:93], s[40:41]
	v_fma_f64 v[92:93], v[90:91], s[8:9], -v[62:63]
	v_fmac_f64_e32 v[62:63], s[8:9], v[90:91]
	v_add_f64 v[2:3], v[62:63], v[2:3]
	v_mul_f64 v[62:63], v[60:61], s[10:11]
	;; [unrolled: 4-line block ×3, first 2 shown]
	v_add_f64 v[14:15], v[90:91], v[14:15]
	v_fma_f64 v[90:91], v[64:65], s[36:37], -v[62:63]
	v_fmac_f64_e32 v[62:63], s[36:37], v[64:65]
	v_add_f64 v[18:19], v[62:63], v[18:19]
	v_add_f64 v[62:63], v[110:111], -v[88:89]
	v_add_f64 v[26:27], v[62:63], v[26:27]
	v_mul_f64 v[62:63], v[60:61], s[48:49]
	v_fma_f64 v[88:89], v[64:65], s[30:31], -v[62:63]
	v_fmac_f64_e32 v[62:63], s[30:31], v[64:65]
	v_add_f64 v[30:31], v[62:63], v[30:31]
	v_mul_f64 v[62:63], v[60:61], s[24:25]
	v_add_f64 v[34:35], v[88:89], v[34:35]
	v_fma_f64 v[88:89], v[64:65], s[26:27], -v[62:63]
	v_fmac_f64_e32 v[62:63], s[26:27], v[64:65]
	s_mov_b32 s3, 0x3fefdd0d
	v_add_f64 v[38:39], v[62:63], v[38:39]
	v_mul_f64 v[62:63], v[60:61], s[2:3]
	v_add_f64 v[42:43], v[88:89], v[42:43]
	v_fma_f64 v[88:89], v[64:65], s[0:1], -v[62:63]
	v_fmac_f64_e32 v[62:63], s[0:1], v[64:65]
	v_add_f64 v[46:47], v[62:63], v[46:47]
	v_mul_f64 v[62:63], v[60:61], s[16:17]
	v_add_f64 v[50:51], v[88:89], v[50:51]
	v_fma_f64 v[88:89], v[64:65], s[6:7], -v[62:63]
	v_fmac_f64_e32 v[62:63], s[6:7], v[64:65]
	v_mul_f64 v[60:61], v[60:61], s[18:19]
	v_add_f64 v[54:55], v[62:63], v[54:55]
	v_fma_f64 v[62:63], v[64:65], s[20:21], -v[60:61]
	v_fmac_f64_e32 v[60:61], s[20:21], v[64:65]
	v_add_f64 v[2:3], v[60:61], v[2:3]
	v_mul_f64 v[60:61], v[52:53], s[18:19]
	v_fma_f64 v[64:65], v[48:49], s[20:21], -v[60:61]
	v_fmac_f64_e32 v[60:61], s[20:21], v[48:49]
	v_add_f64 v[10:11], v[60:61], v[10:11]
	v_mul_f64 v[60:61], v[52:53], s[42:43]
	v_add_f64 v[56:57], v[94:95], -v[56:57]
	v_add_f64 v[14:15], v[64:65], v[14:15]
	v_fma_f64 v[64:65], v[48:49], s[12:13], -v[60:61]
	v_fmac_f64_e32 v[60:61], s[12:13], v[48:49]
	v_add_f64 v[26:27], v[56:57], v[26:27]
	v_mul_f64 v[56:57], v[52:53], s[34:35]
	v_add_f64 v[18:19], v[60:61], v[18:19]
	v_fma_f64 v[60:61], v[48:49], s[36:37], -v[56:57]
	v_fmac_f64_e32 v[56:57], s[36:37], v[48:49]
	v_add_f64 v[30:31], v[56:57], v[30:31]
	v_mul_f64 v[56:57], v[52:53], s[2:3]
	v_add_f64 v[34:35], v[60:61], v[34:35]
	v_fma_f64 v[60:61], v[48:49], s[0:1], -v[56:57]
	v_fmac_f64_e32 v[56:57], s[0:1], v[48:49]
	v_add_f64 v[36:37], v[36:37], -v[40:41]
	v_add_f64 v[38:39], v[56:57], v[38:39]
	v_mul_f64 v[56:57], v[52:53], s[22:23]
	v_add_f64 v[26:27], v[36:37], v[26:27]
	v_mul_f64 v[36:37], v[28:29], s[46:47]
	v_add_f64 v[42:43], v[60:61], v[42:43]
	v_fma_f64 v[60:61], v[48:49], s[8:9], -v[56:57]
	v_fmac_f64_e32 v[56:57], s[8:9], v[48:49]
	v_fma_f64 v[40:41], v[44:45], s[20:21], -v[36:37]
	v_fmac_f64_e32 v[36:37], s[20:21], v[44:45]
	v_add_f64 v[46:47], v[56:57], v[46:47]
	v_mul_f64 v[56:57], v[52:53], s[24:25]
	v_add_f64 v[30:31], v[36:37], v[30:31]
	v_mul_f64 v[36:37], v[28:29], s[16:17]
	v_add_f64 v[50:51], v[60:61], v[50:51]
	v_fma_f64 v[60:61], v[48:49], s[26:27], -v[56:57]
	v_fmac_f64_e32 v[56:57], s[26:27], v[48:49]
	v_mul_f64 v[52:53], v[52:53], s[28:29]
	v_add_f64 v[34:35], v[40:41], v[34:35]
	v_fma_f64 v[40:41], v[44:45], s[6:7], -v[36:37]
	v_fmac_f64_e32 v[36:37], s[6:7], v[44:45]
	v_add_f64 v[54:55], v[56:57], v[54:55]
	v_fma_f64 v[56:57], v[48:49], s[30:31], -v[52:53]
	v_fmac_f64_e32 v[52:53], s[30:31], v[48:49]
	v_mul_f64 v[48:49], v[28:29], s[34:35]
	v_add_f64 v[36:37], v[36:37], v[38:39]
	v_mul_f64 v[38:39], v[28:29], s[24:25]
	v_add_f64 v[2:3], v[52:53], v[2:3]
	v_fma_f64 v[52:53], v[44:45], s[36:37], -v[48:49]
	v_fmac_f64_e32 v[48:49], s[36:37], v[44:45]
	v_add_f64 v[40:41], v[40:41], v[42:43]
	v_fma_f64 v[42:43], v[44:45], s[26:27], -v[38:39]
	v_fmac_f64_e32 v[38:39], s[26:27], v[44:45]
	v_add_f64 v[10:11], v[48:49], v[10:11]
	v_mul_f64 v[48:49], v[28:29], s[28:29]
	v_add_f64 v[38:39], v[38:39], v[46:47]
	v_mul_f64 v[46:47], v[28:29], s[40:41]
	v_mul_f64 v[28:29], v[28:29], s[10:11]
	v_add_f64 v[42:43], v[42:43], v[50:51]
	v_fma_f64 v[50:51], v[44:45], s[12:13], -v[28:29]
	v_fmac_f64_e32 v[28:29], s[12:13], v[44:45]
	v_add_f64 v[14:15], v[52:53], v[14:15]
	v_fma_f64 v[52:53], v[44:45], s[30:31], -v[48:49]
	v_fmac_f64_e32 v[48:49], s[30:31], v[44:45]
	v_add_f64 v[2:3], v[28:29], v[2:3]
	v_mul_f64 v[28:29], v[16:17], s[24:25]
	v_add_f64 v[18:19], v[48:49], v[18:19]
	v_fma_f64 v[48:49], v[44:45], s[8:9], -v[46:47]
	v_fmac_f64_e32 v[46:47], s[8:9], v[44:45]
	v_fma_f64 v[44:45], v[0:1], s[26:27], -v[28:29]
	v_fmac_f64_e32 v[28:29], s[26:27], v[0:1]
	v_add_f64 v[10:11], v[28:29], v[10:11]
	v_mul_f64 v[28:29], v[16:17], s[38:39]
	v_add_f64 v[20:21], v[32:33], -v[20:21]
	v_add_f64 v[14:15], v[44:45], v[14:15]
	v_fma_f64 v[44:45], v[0:1], s[6:7], -v[28:29]
	v_fmac_f64_e32 v[28:29], s[6:7], v[0:1]
	v_add_f64 v[20:21], v[20:21], v[26:27]
	v_mul_f64 v[26:27], v[16:17], s[40:41]
	v_add_f64 v[18:19], v[28:29], v[18:19]
	v_fma_f64 v[28:29], v[0:1], s[8:9], -v[26:27]
	v_fmac_f64_e32 v[26:27], s[8:9], v[0:1]
	v_add_f64 v[26:27], v[26:27], v[30:31]
	v_mul_f64 v[30:31], v[16:17], s[18:19]
	v_add_f64 v[22:23], v[122:123], v[22:23]
	v_add_f64 v[58:59], v[120:121], v[58:59]
	;; [unrolled: 1-line block ×4, first 2 shown]
	v_fma_f64 v[32:33], v[0:1], s[20:21], -v[30:31]
	v_fmac_f64_e32 v[30:31], s[20:21], v[0:1]
	v_mul_f64 v[34:35], v[16:17], s[28:29]
	v_add_f64 v[22:23], v[114:115], v[22:23]
	v_add_f64 v[58:59], v[112:113], v[58:59]
	;; [unrolled: 1-line block ×4, first 2 shown]
	v_fma_f64 v[36:37], v[0:1], s[30:31], -v[34:35]
	v_fmac_f64_e32 v[34:35], s[30:31], v[0:1]
	v_add_f64 v[22:23], v[106:107], v[22:23]
	v_add_f64 v[58:59], v[104:105], v[58:59]
	v_add_f64 v[66:67], v[92:93], v[66:67]
	v_add_f64 v[34:35], v[34:35], v[38:39]
	v_mul_f64 v[38:39], v[16:17], s[10:11]
	v_mul_f64 v[16:17], v[16:17], s[2:3]
	v_add_f64 v[22:23], v[90:91], v[22:23]
	v_add_f64 v[58:59], v[88:89], v[58:59]
	;; [unrolled: 1-line block ×4, first 2 shown]
	v_fma_f64 v[42:43], v[0:1], s[0:1], -v[16:17]
	v_fmac_f64_e32 v[16:17], s[0:1], v[0:1]
	v_add_f64 v[22:23], v[64:65], v[22:23]
	v_add_f64 v[58:59], v[60:61], v[58:59]
	;; [unrolled: 1-line block ×4, first 2 shown]
	v_fma_f64 v[40:41], v[0:1], s[12:13], -v[38:39]
	v_fmac_f64_e32 v[38:39], s[12:13], v[0:1]
	v_add_f64 v[0:1], v[16:17], v[2:3]
	v_lshlrev_b32_e32 v2, 7, v96
	v_add_f64 v[22:23], v[52:53], v[22:23]
	v_add_f64 v[48:49], v[48:49], v[58:59]
	;; [unrolled: 1-line block ×4, first 2 shown]
	v_add3_u32 v2, v138, v2, v97
	v_add_f64 v[22:23], v[44:45], v[22:23]
	v_add_f64 v[40:41], v[40:41], v[48:49]
	;; [unrolled: 1-line block ×4, first 2 shown]
	ds_write2_b64 v2, v[6:7], v[14:15] offset1:1
	ds_write2_b64 v2, v[22:23], v[20:21] offset0:2 offset1:3
	ds_write2_b64 v2, v[28:29], v[32:33] offset0:4 offset1:5
	;; [unrolled: 1-line block ×7, first 2 shown]
	ds_write_b64 v2, v[10:11] offset:128
.LBB0_14:
	s_or_b64 exec, exec, s[14:15]
	s_movk_i32 s0, 0xf1
	v_mul_lo_u16_sdwa v0, v96, s0 dst_sel:DWORD dst_unused:UNUSED_PAD src0_sel:BYTE_0 src1_sel:DWORD
	v_lshrrev_b16_e32 v116, 12, v0
	v_add_u32_e32 v112, 0x55, v96
	v_mul_lo_u16_e32 v0, 17, v116
	v_sub_u16_e32 v117, v96, v0
	v_mul_lo_u16_sdwa v0, v112, s0 dst_sel:DWORD dst_unused:UNUSED_PAD src0_sel:BYTE_0 src1_sel:DWORD
	v_lshrrev_b16_e32 v118, 12, v0
	v_mov_b32_e32 v10, 4
	v_mul_lo_u16_e32 v0, 17, v118
	v_lshlrev_b32_sdwa v11, v10, v117 dst_sel:DWORD dst_unused:UNUSED_PAD src0_sel:DWORD src1_sel:BYTE_0
	v_sub_u16_e32 v119, v112, v0
	v_add_u16_e32 v113, 0xaa, v96
	s_waitcnt lgkmcnt(0)
	s_barrier
	v_lshlrev_b32_sdwa v14, v10, v119 dst_sel:DWORD dst_unused:UNUSED_PAD src0_sel:DWORD src1_sel:BYTE_0
	global_load_dwordx4 v[20:23], v11, s[4:5]
	global_load_dwordx4 v[0:3], v14, s[4:5]
	v_mul_lo_u16_sdwa v11, v113, s0 dst_sel:DWORD dst_unused:UNUSED_PAD src0_sel:BYTE_0 src1_sel:DWORD
	v_lshrrev_b16_e32 v120, 12, v11
	v_add_u32_e32 v6, 0xff, v96
	v_mul_lo_u16_e32 v11, 17, v120
	s_mov_b32 s0, 0xf0f1
	v_sub_u16_e32 v121, v113, v11
	v_mul_u32_u24_sdwa v11, v6, s0 dst_sel:DWORD dst_unused:UNUSED_PAD src0_sel:WORD_0 src1_sel:DWORD
	v_lshrrev_b32_e32 v122, 20, v11
	v_mul_lo_u16_e32 v11, 17, v122
	v_sub_u16_e32 v123, v6, v11
	v_lshlrev_b32_sdwa v10, v10, v121 dst_sel:DWORD dst_unused:UNUSED_PAD src0_sel:DWORD src1_sel:BYTE_0
	v_lshlrev_b32_e32 v6, 4, v123
	global_load_dwordx4 v[38:41], v10, s[4:5]
	global_load_dwordx4 v[34:37], v6, s[4:5]
	v_mul_u32_u24_sdwa v6, v137, s0 dst_sel:DWORD dst_unused:UNUSED_PAD src0_sel:WORD_0 src1_sel:DWORD
	v_lshrrev_b32_e32 v124, 20, v6
	v_mul_u32_u24_sdwa v10, v136, s0 dst_sel:DWORD dst_unused:UNUSED_PAD src0_sel:WORD_0 src1_sel:DWORD
	v_mul_lo_u16_e32 v6, 17, v124
	v_lshrrev_b32_e32 v126, 20, v10
	v_sub_u16_e32 v125, v137, v6
	v_mul_lo_u16_e32 v10, 17, v126
	v_lshlrev_b32_e32 v6, 4, v125
	v_sub_u16_e32 v127, v136, v10
	v_add_u32_e32 v7, 0x1fe, v96
	v_lshlrev_b32_e32 v10, 4, v127
	global_load_dwordx4 v[46:49], v6, s[4:5]
	global_load_dwordx4 v[42:45], v10, s[4:5]
	v_mul_u32_u24_sdwa v6, v7, s0 dst_sel:DWORD dst_unused:UNUSED_PAD src0_sel:WORD_0 src1_sel:DWORD
	v_lshrrev_b32_e32 v136, 20, v6
	v_mul_lo_u16_e32 v6, 17, v136
	v_sub_u16_e32 v137, v7, v6
	v_lshlrev_b32_e32 v6, 4, v137
	global_load_dwordx4 v[58:61], v6, s[4:5]
	ds_read_b64 v[108:109], v128
	ds_read2_b64 v[92:95], v132 offset0:83 offset1:168
	ds_read2_b64 v[54:57], v129 offset0:85 offset1:170
	;; [unrolled: 1-line block ×3, first 2 shown]
	ds_read2_b64 v[50:53], v135 offset1:255
	ds_read2_b64 v[62:65], v133 offset0:167 offset1:252
	ds_read_b64 v[104:105], v131
	ds_read_b64 v[106:107], v130
	ds_read_b64 v[110:111], v129 offset:8840
	s_movk_i32 s0, 0x110
	s_waitcnt lgkmcnt(0)
	s_barrier
	s_mov_b32 s1, 0x5040100
	s_waitcnt vmcnt(6)
	v_mul_f64 v[6:7], v[92:93], v[22:23]
	v_fmac_f64_e32 v[6:7], v[72:73], v[20:21]
	v_add_f64 v[30:31], v[4:5], -v[6:7]
	s_waitcnt vmcnt(5)
	v_mul_f64 v[10:11], v[94:95], v[2:3]
	v_fmac_f64_e32 v[10:11], v[74:75], v[0:1]
	v_add_f64 v[10:11], v[80:81], -v[10:11]
	;; [unrolled: 4-line block ×3, first 2 shown]
	v_fma_f64 v[66:67], v[82:83], 2.0, -v[32:33]
	s_waitcnt vmcnt(3)
	v_mul_f64 v[16:17], v[90:91], v[36:37]
	v_fmac_f64_e32 v[16:17], v[70:71], v[34:35]
	v_add_f64 v[16:17], v[84:85], -v[16:17]
	s_waitcnt vmcnt(2)
	v_mul_f64 v[18:19], v[62:63], v[48:49]
	s_waitcnt vmcnt(1)
	v_mul_f64 v[26:27], v[64:65], v[44:45]
	v_fmac_f64_e32 v[26:27], v[78:79], v[42:43]
	v_add_f64 v[6:7], v[8:9], -v[26:27]
	v_fma_f64 v[26:27], v[4:5], 2.0, -v[30:31]
	v_fma_f64 v[4:5], v[8:9], 2.0, -v[6:7]
	v_mov_b32_e32 v9, 3
	v_mad_u32_u24 v8, v116, s0, 0
	v_lshlrev_b32_sdwa v82, v9, v117 dst_sel:DWORD dst_unused:UNUSED_PAD src0_sel:DWORD src1_sel:BYTE_0
	v_add3_u32 v82, v8, v82, v97
	s_waitcnt vmcnt(0)
	v_mul_f64 v[28:29], v[110:111], v[60:61]
	ds_write2_b64 v82, v[26:27], v[30:31] offset1:17
	v_mad_u32_u24 v8, v118, s0, 0
	v_lshlrev_b32_sdwa v26, v9, v119 dst_sel:DWORD dst_unused:UNUSED_PAD src0_sel:DWORD src1_sel:BYTE_0
	v_fmac_f64_e32 v[28:29], v[24:25], v[58:59]
	v_add3_u32 v83, v8, v26, v97
	v_mad_u32_u24 v8, v120, s0, 0
	v_lshlrev_b32_sdwa v9, v9, v121 dst_sel:DWORD dst_unused:UNUSED_PAD src0_sel:DWORD src1_sel:BYTE_0
	v_add_f64 v[14:15], v[86:87], -v[28:29]
	v_fma_f64 v[28:29], v[80:81], 2.0, -v[10:11]
	v_fma_f64 v[80:81], v[84:85], 2.0, -v[16:17]
	v_add3_u32 v84, v8, v9, v97
	v_mad_u32_u24 v8, v122, s0, 0
	v_lshlrev_b32_e32 v9, 3, v123
	v_add3_u32 v85, v8, v9, v97
	v_perm_b32 v8, v126, v124, s1
	v_pk_mul_lo_u16 v8, v8, s0 op_sel_hi:[1,0]
	v_fmac_f64_e32 v[18:19], v[76:77], v[46:47]
	v_and_b32_e32 v9, 0xfff0, v8
	v_add_f64 v[18:19], v[12:13], -v[18:19]
	ds_write2_b64 v83, v[28:29], v[10:11] offset1:17
	v_add_u32_e32 v9, 0, v9
	v_lshlrev_b32_e32 v10, 3, v125
	v_fma_f64 v[114:115], v[12:13], 2.0, -v[18:19]
	v_fma_f64 v[12:13], v[86:87], 2.0, -v[14:15]
	v_add3_u32 v86, v9, v10, v97
	v_mov_b32_e32 v9, 0
	v_add_u32_sdwa v8, v9, v8 dst_sel:DWORD dst_unused:UNUSED_PAD src0_sel:DWORD src1_sel:WORD_1
	v_lshlrev_b32_e32 v9, 3, v127
	v_add3_u32 v87, v8, v9, v97
	v_mad_u32_u24 v8, v136, s0, 0
	v_lshlrev_b32_e32 v9, 3, v137
	ds_write2_b64 v84, v[66:67], v[32:33] offset1:17
	ds_write2_b64 v85, v[80:81], v[16:17] offset1:17
	;; [unrolled: 1-line block ×3, first 2 shown]
	v_add3_u32 v114, v8, v9, v97
	v_add_u32_e32 v115, 0x800, v129
	ds_write2_b64 v87, v[4:5], v[6:7] offset1:17
	ds_write2_b64 v114, v[12:13], v[14:15] offset1:17
	s_waitcnt lgkmcnt(0)
	s_barrier
	ds_read2_b64 v[8:11], v129 offset0:85 offset1:238
	ds_read2_b64 v[30:33], v115 offset0:67 offset1:220
	;; [unrolled: 1-line block ×4, first 2 shown]
	ds_read_b64 v[66:67], v128
	ds_read_b64 v[80:81], v129 offset:8296
	s_movk_i32 s0, 0x44
	v_cmp_gt_u32_e64 s[0:1], s0, v96
	s_and_saveexec_b64 s[2:3], s[0:1]
	s_cbranch_execz .LBB0_16
; %bb.15:
	v_add_u32_e32 v4, 0x500, v129
	v_add_u32_e32 v12, 0x1400, v129
	ds_read2_b64 v[4:7], v4 offset0:10 offset1:248
	ds_read2_b64 v[12:15], v12 offset0:6 offset1:244
	ds_read_b64 v[100:101], v129 offset:8976
.LBB0_16:
	s_or_b64 exec, exec, s[2:3]
	v_mul_f64 v[22:23], v[72:73], v[22:23]
	v_fma_f64 v[20:21], v[92:93], v[20:21], -v[22:23]
	v_mul_f64 v[2:3], v[74:75], v[2:3]
	v_mul_f64 v[22:23], v[70:71], v[36:37]
	v_fma_f64 v[0:1], v[94:95], v[0:1], -v[2:3]
	v_mul_f64 v[2:3], v[68:69], v[40:41]
	v_fma_f64 v[22:23], v[90:91], v[34:35], -v[22:23]
	v_mul_f64 v[34:35], v[76:77], v[48:49]
	v_mul_f64 v[36:37], v[78:79], v[44:45]
	;; [unrolled: 1-line block ×3, first 2 shown]
	v_fma_f64 v[2:3], v[88:89], v[38:39], -v[2:3]
	v_fma_f64 v[34:35], v[62:63], v[46:47], -v[34:35]
	;; [unrolled: 1-line block ×4, first 2 shown]
	v_add_f64 v[20:21], v[108:109], -v[20:21]
	v_add_f64 v[22:23], v[50:51], -v[22:23]
	v_fma_f64 v[38:39], v[108:109], 2.0, -v[20:21]
	v_add_f64 v[40:41], v[54:55], -v[0:1]
	v_add_f64 v[44:45], v[56:57], -v[2:3]
	v_fma_f64 v[48:49], v[50:51], 2.0, -v[22:23]
	v_add_f64 v[50:51], v[106:107], -v[34:35]
	v_add_f64 v[2:3], v[104:105], -v[36:37]
	;; [unrolled: 1-line block ×3, first 2 shown]
	v_fma_f64 v[42:43], v[54:55], 2.0, -v[40:41]
	v_fma_f64 v[46:47], v[56:57], 2.0, -v[44:45]
	;; [unrolled: 1-line block ×5, first 2 shown]
	s_waitcnt lgkmcnt(0)
	s_barrier
	ds_write2_b64 v82, v[38:39], v[20:21] offset1:17
	ds_write2_b64 v83, v[42:43], v[40:41] offset1:17
	;; [unrolled: 1-line block ×7, first 2 shown]
	v_add_u32_e32 v20, 0x1000, v129
	s_waitcnt lgkmcnt(0)
	s_barrier
	ds_read2_b64 v[22:25], v129 offset0:85 offset1:238
	ds_read2_b64 v[38:41], v115 offset0:67 offset1:220
	;; [unrolled: 1-line block ×3, first 2 shown]
	v_add_u32_e32 v20, 0x1800, v129
	ds_read2_b64 v[46:49], v20 offset0:31 offset1:184
	ds_read_b64 v[54:55], v128
	ds_read_b64 v[20:21], v129 offset:8296
	s_and_saveexec_b64 s[2:3], s[0:1]
	s_cbranch_execz .LBB0_18
; %bb.17:
	v_add_u32_e32 v0, 0x500, v129
	v_add_u32_e32 v34, 0x1400, v129
	ds_read2_b64 v[0:3], v0 offset0:10 offset1:248
	ds_read2_b64 v[34:37], v34 offset0:6 offset1:244
	ds_read_b64 v[102:103], v129 offset:8976
.LBB0_18:
	s_or_b64 exec, exec, s[2:3]
	s_movk_i32 s2, 0xf1
	v_mul_lo_u16_sdwa v50, v96, s2 dst_sel:DWORD dst_unused:UNUSED_PAD src0_sel:BYTE_0 src1_sel:DWORD
	v_lshrrev_b16_e32 v144, 13, v50
	v_mul_lo_u16_e32 v50, 34, v144
	v_sub_u16_e32 v145, v96, v50
	v_mov_b32_e32 v50, 6
	v_lshlrev_b32_sdwa v51, v50, v145 dst_sel:DWORD dst_unused:UNUSED_PAD src0_sel:DWORD src1_sel:BYTE_0
	global_load_dwordx4 v[84:87], v51, s[4:5] offset:288
	global_load_dwordx4 v[76:79], v51, s[4:5] offset:272
	;; [unrolled: 1-line block ×4, first 2 shown]
	v_mul_lo_u16_sdwa v51, v112, s2 dst_sel:DWORD dst_unused:UNUSED_PAD src0_sel:BYTE_0 src1_sel:DWORD
	v_lshrrev_b16_e32 v146, 13, v51
	v_mul_lo_u16_e32 v51, 34, v146
	v_sub_u16_e32 v147, v112, v51
	v_lshlrev_b32_sdwa v51, v50, v147 dst_sel:DWORD dst_unused:UNUSED_PAD src0_sel:DWORD src1_sel:BYTE_0
	global_load_dwordx4 v[104:107], v51, s[4:5] offset:288
	global_load_dwordx4 v[108:111], v51, s[4:5] offset:272
	;; [unrolled: 1-line block ×4, first 2 shown]
	v_mul_lo_u16_sdwa v51, v113, s2 dst_sel:DWORD dst_unused:UNUSED_PAD src0_sel:BYTE_0 src1_sel:DWORD
	v_lshrrev_b16_e32 v82, 13, v51
	v_mul_lo_u16_e32 v51, 34, v82
	v_sub_u16_e32 v83, v113, v51
	v_lshlrev_b32_sdwa v50, v50, v83 dst_sel:DWORD dst_unused:UNUSED_PAD src0_sel:DWORD src1_sel:BYTE_0
	global_load_dwordx4 v[122:125], v50, s[4:5] offset:272
	global_load_dwordx4 v[132:135], v50, s[4:5] offset:288
	;; [unrolled: 1-line block ×4, first 2 shown]
	s_mov_b32 s6, 0x134454ff
	s_mov_b32 s7, 0xbfee6f0e
	;; [unrolled: 1-line block ×10, first 2 shown]
	s_movk_i32 s16, 0x550
	s_waitcnt lgkmcnt(0)
	s_barrier
	s_waitcnt vmcnt(11)
	v_mul_f64 v[72:73], v[40:41], v[86:87]
	s_waitcnt vmcnt(10)
	v_mul_f64 v[70:71], v[24:25], v[78:79]
	v_mul_f64 v[126:127], v[10:11], v[78:79]
	s_waitcnt vmcnt(8)
	v_mul_f64 v[74:75], v[44:45], v[94:95]
	v_fmac_f64_e32 v[70:71], v[10:11], v[76:77]
	v_mul_f64 v[86:87], v[32:33], v[86:87]
	v_mul_f64 v[94:95], v[28:29], v[94:95]
	v_mul_f64 v[78:79], v[48:49], v[90:91]
	v_mul_f64 v[90:91], v[18:19], v[90:91]
	v_fma_f64 v[76:77], v[24:25], v[76:77], -v[126:127]
	v_fmac_f64_e32 v[72:73], v[32:33], v[84:85]
	v_fmac_f64_e32 v[74:75], v[28:29], v[92:93]
	s_waitcnt vmcnt(3)
	v_mul_f64 v[64:65], v[2:3], v[124:125]
	v_mul_f64 v[124:125], v[6:7], v[124:125]
	v_fma_f64 v[24:25], v[2:3], v[122:123], -v[124:125]
	v_add_f64 v[2:3], v[66:67], v[70:71]
	s_waitcnt vmcnt(2)
	v_mul_f64 v[60:61], v[34:35], v[134:135]
	v_fma_f64 v[32:33], v[40:41], v[84:85], -v[86:87]
	v_fma_f64 v[40:41], v[44:45], v[92:93], -v[94:95]
	;; [unrolled: 1-line block ×3, first 2 shown]
	v_fmac_f64_e32 v[64:65], v[6:7], v[122:123]
	v_add_f64 v[6:7], v[72:73], v[74:75]
	v_add_f64 v[2:3], v[2:3], v[72:73]
	v_mul_f64 v[50:51], v[38:39], v[110:111]
	v_mul_f64 v[110:111], v[30:31], v[110:111]
	;; [unrolled: 1-line block ×4, first 2 shown]
	s_waitcnt vmcnt(1)
	v_mul_f64 v[62:63], v[36:37], v[138:139]
	v_mul_f64 v[138:139], v[14:15], v[138:139]
	v_fmac_f64_e32 v[78:79], v[18:19], v[88:89]
	v_fmac_f64_e32 v[60:61], v[12:13], v[132:133]
	v_add_f64 v[12:13], v[76:77], -v[44:45]
	v_fma_f64 v[6:7], -0.5, v[6:7], v[66:67]
	v_add_f64 v[2:3], v[2:3], v[74:75]
	v_mul_f64 v[106:107], v[26:27], v[106:107]
	v_fma_f64 v[10:11], v[38:39], v[108:109], -v[110:111]
	v_fmac_f64_e32 v[52:53], v[26:27], v[104:105]
	v_fma_f64 v[26:27], v[34:35], v[132:133], -v[134:135]
	v_fmac_f64_e32 v[62:63], v[14:15], v[136:137]
	v_fma_f64 v[28:29], v[36:37], v[136:137], -v[138:139]
	v_add_f64 v[14:15], v[32:33], -v[40:41]
	v_add_f64 v[34:35], v[70:71], -v[72:73]
	v_fma_f64 v[36:37], s[6:7], v[12:13], v[6:7]
	v_add_f64 v[38:39], v[2:3], v[78:79]
	v_add_f64 v[2:3], v[78:79], -v[74:75]
	v_fmac_f64_e32 v[6:7], s[10:11], v[12:13]
	v_fmac_f64_e32 v[36:37], s[2:3], v[14:15]
	v_add_f64 v[2:3], v[34:35], v[2:3]
	v_fmac_f64_e32 v[6:7], s[12:13], v[14:15]
	v_fmac_f64_e32 v[36:37], s[8:9], v[2:3]
	;; [unrolled: 1-line block ×3, first 2 shown]
	v_add_f64 v[2:3], v[70:71], v[78:79]
	v_fmac_f64_e32 v[66:67], -0.5, v[2:3]
	v_fma_f64 v[18:19], v[42:43], v[104:105], -v[106:107]
	v_fma_f64 v[42:43], s[10:11], v[14:15], v[66:67]
	v_add_f64 v[2:3], v[72:73], -v[70:71]
	v_add_f64 v[34:35], v[74:75], -v[78:79]
	v_fmac_f64_e32 v[66:67], s[6:7], v[14:15]
	v_fmac_f64_e32 v[50:51], v[30:31], v[108:109]
	;; [unrolled: 1-line block ×3, first 2 shown]
	v_add_f64 v[2:3], v[2:3], v[34:35]
	v_fmac_f64_e32 v[66:67], s[12:13], v[12:13]
	v_mul_f64 v[56:57], v[46:47], v[120:121]
	v_fmac_f64_e32 v[42:43], s[8:9], v[2:3]
	v_fmac_f64_e32 v[66:67], s[8:9], v[2:3]
	v_add_f64 v[2:3], v[8:9], v[50:51]
	v_mul_f64 v[58:59], v[20:21], v[116:117]
	v_fmac_f64_e32 v[56:57], v[16:17], v[118:119]
	v_add_f64 v[2:3], v[2:3], v[52:53]
	v_mul_f64 v[116:117], v[80:81], v[116:117]
	;; [unrolled: 3-line block ×3, first 2 shown]
	v_fma_f64 v[20:21], v[20:21], v[114:115], -v[116:117]
	v_add_f64 v[12:13], v[2:3], v[58:59]
	v_add_f64 v[2:3], v[52:53], v[56:57]
	v_fma_f64 v[16:17], v[46:47], v[118:119], -v[120:121]
	v_fma_f64 v[14:15], -0.5, v[2:3], v[8:9]
	v_add_f64 v[2:3], v[10:11], -v[20:21]
	v_fma_f64 v[46:47], s[6:7], v[2:3], v[14:15]
	v_add_f64 v[34:35], v[18:19], -v[16:17]
	v_add_f64 v[48:49], v[50:51], -v[52:53]
	;; [unrolled: 1-line block ×3, first 2 shown]
	v_fmac_f64_e32 v[14:15], s[10:11], v[2:3]
	v_fmac_f64_e32 v[46:47], s[2:3], v[34:35]
	v_add_f64 v[48:49], v[48:49], v[80:81]
	v_fmac_f64_e32 v[14:15], s[12:13], v[34:35]
	v_fmac_f64_e32 v[46:47], s[8:9], v[48:49]
	;; [unrolled: 1-line block ×3, first 2 shown]
	v_add_f64 v[48:49], v[50:51], v[58:59]
	v_fmac_f64_e32 v[8:9], -0.5, v[48:49]
	v_fma_f64 v[48:49], s[10:11], v[34:35], v[8:9]
	v_fmac_f64_e32 v[8:9], s[6:7], v[34:35]
	v_fmac_f64_e32 v[48:49], s[2:3], v[2:3]
	;; [unrolled: 1-line block ×3, first 2 shown]
	v_mov_b32_e32 v2, 3
	v_mad_u32_u24 v3, v144, s16, 0
	v_lshlrev_b32_sdwa v34, v2, v145 dst_sel:DWORD dst_unused:UNUSED_PAD src0_sel:DWORD src1_sel:BYTE_0
	v_add3_u32 v34, v3, v34, v97
	s_waitcnt vmcnt(0)
	v_mul_f64 v[68:69], v[102:103], v[142:143]
	v_mul_f64 v[142:143], v[100:101], v[142:143]
	v_add_f64 v[80:81], v[52:53], -v[50:51]
	v_add_f64 v[84:85], v[56:57], -v[58:59]
	ds_write2_b64 v34, v[38:39], v[36:37] offset1:34
	ds_write2_b64 v34, v[42:43], v[66:67] offset0:68 offset1:102
	ds_write_b64 v34, v[6:7] offset:1088
	v_mad_u32_u24 v3, v146, s16, 0
	v_lshlrev_b32_sdwa v6, v2, v147 dst_sel:DWORD dst_unused:UNUSED_PAD src0_sel:DWORD src1_sel:BYTE_0
	v_fmac_f64_e32 v[68:69], v[100:101], v[140:141]
	v_fma_f64 v[30:31], v[102:103], v[140:141], -v[142:143]
	v_add_f64 v[80:81], v[80:81], v[84:85]
	v_add3_u32 v35, v3, v6, v97
	v_fmac_f64_e32 v[48:49], s[8:9], v[80:81]
	v_fmac_f64_e32 v[8:9], s[8:9], v[80:81]
	ds_write2_b64 v35, v[12:13], v[46:47] offset1:34
	ds_write2_b64 v35, v[48:49], v[8:9] offset0:68 offset1:102
	ds_write_b64 v35, v[14:15] offset:1088
	s_and_saveexec_b64 s[14:15], s[0:1]
	s_cbranch_execz .LBB0_20
; %bb.19:
	v_add_f64 v[12:13], v[64:65], v[68:69]
	v_add_f64 v[6:7], v[60:61], -v[64:65]
	v_add_f64 v[8:9], v[62:63], -v[68:69]
	v_fma_f64 v[12:13], -0.5, v[12:13], v[4:5]
	v_add_f64 v[14:15], v[26:27], -v[28:29]
	v_add_f64 v[6:7], v[6:7], v[8:9]
	v_add_f64 v[8:9], v[24:25], -v[30:31]
	v_fma_f64 v[36:37], s[6:7], v[14:15], v[12:13]
	v_fmac_f64_e32 v[12:13], s[10:11], v[14:15]
	v_fmac_f64_e32 v[36:37], s[12:13], v[8:9]
	;; [unrolled: 1-line block ×5, first 2 shown]
	v_add_f64 v[6:7], v[64:65], -v[60:61]
	v_add_f64 v[38:39], v[68:69], -v[62:63]
	v_add_f64 v[6:7], v[6:7], v[38:39]
	v_add_f64 v[38:39], v[60:61], v[62:63]
	v_fma_f64 v[38:39], -0.5, v[38:39], v[4:5]
	v_add_f64 v[4:5], v[4:5], v[64:65]
	v_fma_f64 v[42:43], s[10:11], v[8:9], v[38:39]
	v_fmac_f64_e32 v[38:39], s[6:7], v[8:9]
	v_add_f64 v[4:5], v[4:5], v[60:61]
	v_fmac_f64_e32 v[38:39], s[2:3], v[14:15]
	v_add_f64 v[4:5], v[4:5], v[62:63]
	v_mad_u32_u24 v3, v82, s16, 0
	v_lshlrev_b32_sdwa v2, v2, v83 dst_sel:DWORD dst_unused:UNUSED_PAD src0_sel:DWORD src1_sel:BYTE_0
	v_fmac_f64_e32 v[42:43], s[12:13], v[14:15]
	v_fmac_f64_e32 v[38:39], s[8:9], v[6:7]
	v_add_f64 v[4:5], v[4:5], v[68:69]
	v_add3_u32 v2, v3, v2, v97
	v_fmac_f64_e32 v[42:43], s[8:9], v[6:7]
	ds_write2_b64 v2, v[4:5], v[38:39] offset1:34
	ds_write2_b64 v2, v[12:13], v[36:37] offset0:68 offset1:102
	ds_write_b64 v2, v[42:43] offset:1088
.LBB0_20:
	s_or_b64 exec, exec, s[14:15]
	v_add_f64 v[2:3], v[54:55], v[76:77]
	v_add_f64 v[2:3], v[2:3], v[32:33]
	;; [unrolled: 1-line block ×5, first 2 shown]
	v_fma_f64 v[38:39], -0.5, v[2:3], v[54:55]
	v_add_f64 v[2:3], v[70:71], -v[78:79]
	v_fma_f64 v[42:43], s[10:11], v[2:3], v[38:39]
	v_add_f64 v[4:5], v[72:73], -v[74:75]
	v_add_f64 v[6:7], v[76:77], -v[32:33]
	;; [unrolled: 1-line block ×3, first 2 shown]
	v_fmac_f64_e32 v[38:39], s[6:7], v[2:3]
	v_fmac_f64_e32 v[42:43], s[12:13], v[4:5]
	v_add_f64 v[6:7], v[6:7], v[8:9]
	v_fmac_f64_e32 v[38:39], s[2:3], v[4:5]
	v_fmac_f64_e32 v[42:43], s[8:9], v[6:7]
	;; [unrolled: 1-line block ×3, first 2 shown]
	v_add_f64 v[6:7], v[76:77], v[44:45]
	v_fmac_f64_e32 v[54:55], -0.5, v[6:7]
	v_fma_f64 v[46:47], s[6:7], v[4:5], v[54:55]
	v_fmac_f64_e32 v[54:55], s[10:11], v[4:5]
	v_fmac_f64_e32 v[46:47], s[12:13], v[2:3]
	;; [unrolled: 1-line block ×3, first 2 shown]
	v_add_f64 v[2:3], v[22:23], v[10:11]
	v_add_f64 v[2:3], v[2:3], v[18:19]
	;; [unrolled: 1-line block ×3, first 2 shown]
	v_add_f64 v[6:7], v[32:33], -v[76:77]
	v_add_f64 v[8:9], v[40:41], -v[44:45]
	v_add_f64 v[32:33], v[2:3], v[20:21]
	v_add_f64 v[2:3], v[18:19], v[16:17]
	;; [unrolled: 1-line block ×3, first 2 shown]
	v_fma_f64 v[40:41], -0.5, v[2:3], v[22:23]
	v_add_f64 v[2:3], v[50:51], -v[58:59]
	v_fmac_f64_e32 v[46:47], s[8:9], v[6:7]
	v_fmac_f64_e32 v[54:55], s[8:9], v[6:7]
	v_fma_f64 v[44:45], s[10:11], v[2:3], v[40:41]
	v_add_f64 v[4:5], v[52:53], -v[56:57]
	v_add_f64 v[6:7], v[10:11], -v[18:19]
	;; [unrolled: 1-line block ×3, first 2 shown]
	v_fmac_f64_e32 v[40:41], s[6:7], v[2:3]
	v_fmac_f64_e32 v[44:45], s[12:13], v[4:5]
	v_add_f64 v[6:7], v[6:7], v[8:9]
	v_fmac_f64_e32 v[40:41], s[2:3], v[4:5]
	v_fmac_f64_e32 v[44:45], s[8:9], v[6:7]
	;; [unrolled: 1-line block ×3, first 2 shown]
	v_add_f64 v[6:7], v[10:11], v[20:21]
	v_fmac_f64_e32 v[22:23], -0.5, v[6:7]
	v_fma_f64 v[48:49], s[6:7], v[4:5], v[22:23]
	v_add_f64 v[6:7], v[18:19], -v[10:11]
	v_add_f64 v[8:9], v[16:17], -v[20:21]
	v_fmac_f64_e32 v[22:23], s[10:11], v[4:5]
	v_fmac_f64_e32 v[48:49], s[12:13], v[2:3]
	v_add_f64 v[6:7], v[6:7], v[8:9]
	v_fmac_f64_e32 v[22:23], s[2:3], v[2:3]
	v_fmac_f64_e32 v[48:49], s[8:9], v[6:7]
	;; [unrolled: 1-line block ×3, first 2 shown]
	v_add_u32_e32 v6, 0x7f8, v129
	s_waitcnt lgkmcnt(0)
	s_barrier
	ds_read_b64 v[50:51], v128
	ds_read2_b64 v[2:5], v129 offset0:85 offset1:170
	ds_read2_b64 v[14:17], v6 offset1:255
	v_add_u32_e32 v6, 0x1000, v129
	ds_read2_b64 v[18:21], v6 offset0:83 offset1:168
	v_add_u32_e32 v6, 0x1400, v129
	ds_read2_b64 v[10:13], v6 offset0:125 offset1:210
	;; [unrolled: 2-line block ×3, first 2 shown]
	ds_read_b64 v[58:59], v131
	ds_read_b64 v[52:53], v130
	ds_read_b64 v[56:57], v129 offset:8840
	s_waitcnt lgkmcnt(0)
	s_barrier
	ds_write2_b64 v34, v[36:37], v[42:43] offset1:34
	ds_write2_b64 v34, v[46:47], v[54:55] offset0:68 offset1:102
	ds_write_b64 v34, v[38:39] offset:1088
	ds_write2_b64 v35, v[32:33], v[44:45] offset1:34
	ds_write2_b64 v35, v[48:49], v[22:23] offset0:68 offset1:102
	ds_write_b64 v35, v[40:41] offset:1088
	s_and_saveexec_b64 s[2:3], s[0:1]
	s_cbranch_execz .LBB0_22
; %bb.21:
	v_add_f64 v[32:33], v[26:27], v[28:29]
	s_mov_b32 s0, 0x134454ff
	v_fma_f64 v[32:33], -0.5, v[32:33], v[0:1]
	v_add_f64 v[34:35], v[64:65], -v[68:69]
	s_mov_b32 s1, 0x3fee6f0e
	s_mov_b32 s6, 0x4755a5e
	;; [unrolled: 1-line block ×4, first 2 shown]
	v_fma_f64 v[36:37], s[0:1], v[34:35], v[32:33]
	v_add_f64 v[38:39], v[60:61], -v[62:63]
	s_mov_b32 s7, 0x3fe2cf23
	v_add_f64 v[40:41], v[24:25], -v[26:27]
	v_add_f64 v[42:43], v[30:31], -v[28:29]
	v_fmac_f64_e32 v[32:33], s[10:11], v[34:35]
	s_mov_b32 s13, 0xbfe2cf23
	s_mov_b32 s12, s6
	v_fmac_f64_e32 v[36:37], s[6:7], v[38:39]
	v_add_f64 v[40:41], v[40:41], v[42:43]
	v_fmac_f64_e32 v[32:33], s[12:13], v[38:39]
	v_fmac_f64_e32 v[36:37], s[8:9], v[40:41]
	;; [unrolled: 1-line block ×3, first 2 shown]
	v_add_f64 v[40:41], v[24:25], v[30:31]
	v_add_f64 v[22:23], v[0:1], v[24:25]
	v_fmac_f64_e32 v[0:1], -0.5, v[40:41]
	v_add_f64 v[22:23], v[22:23], v[26:27]
	v_fma_f64 v[40:41], s[10:11], v[38:39], v[0:1]
	v_add_f64 v[24:25], v[26:27], -v[24:25]
	v_add_f64 v[26:27], v[28:29], -v[30:31]
	v_fmac_f64_e32 v[0:1], s[0:1], v[38:39]
	v_fmac_f64_e32 v[40:41], s[6:7], v[34:35]
	v_add_f64 v[24:25], v[24:25], v[26:27]
	v_fmac_f64_e32 v[0:1], s[12:13], v[34:35]
	v_fmac_f64_e32 v[40:41], s[8:9], v[24:25]
	;; [unrolled: 1-line block ×3, first 2 shown]
	s_movk_i32 s0, 0x550
	v_mov_b32_e32 v25, 3
	v_add_f64 v[22:23], v[22:23], v[28:29]
	v_mad_u32_u24 v24, v82, s0, 0
	v_lshlrev_b32_sdwa v25, v25, v83 dst_sel:DWORD dst_unused:UNUSED_PAD src0_sel:DWORD src1_sel:BYTE_0
	v_add_f64 v[22:23], v[22:23], v[30:31]
	v_add3_u32 v24, v24, v25, v97
	ds_write2_b64 v24, v[22:23], v[36:37] offset1:34
	ds_write2_b64 v24, v[40:41], v[0:1] offset0:68 offset1:102
	ds_write_b64 v24, v[32:33] offset:1088
.LBB0_22:
	s_or_b64 exec, exec, s[2:3]
	s_waitcnt lgkmcnt(0)
	s_barrier
	s_and_saveexec_b64 s[0:1], vcc
	s_cbranch_execz .LBB0_24
; %bb.23:
	v_mul_u32_u24_e32 v0, 6, v112
	v_lshlrev_b32_e32 v0, 4, v0
	global_load_dwordx4 v[22:25], v0, s[4:5] offset:2496
	global_load_dwordx4 v[26:29], v0, s[4:5] offset:2480
	;; [unrolled: 1-line block ×6, first 2 shown]
	v_mul_u32_u24_e32 v76, 6, v96
	v_add_u32_e32 v60, 0x1400, v129
	v_add_u32_e32 v64, 0x1000, v129
	;; [unrolled: 1-line block ×4, first 2 shown]
	v_lshlrev_b32_e32 v97, 4, v76
	ds_read2_b64 v[34:37], v129 offset0:85 offset1:170
	ds_read_b64 v[0:1], v131
	ds_read_b64 v[54:55], v130
	ds_read_b64 v[104:105], v129 offset:8840
	ds_read_b64 v[106:107], v128
	ds_read2_b64 v[60:63], v60 offset0:125 offset1:210
	ds_read2_b64 v[64:67], v64 offset0:83 offset1:168
	;; [unrolled: 1-line block ×3, first 2 shown]
	ds_read2_b64 v[72:75], v72 offset1:255
	global_load_dwordx4 v[76:79], v97, s[4:5] offset:2496
	global_load_dwordx4 v[80:83], v97, s[4:5] offset:2480
	;; [unrolled: 1-line block ×6, first 2 shown]
	s_mov_b32 s10, 0x37e14327
	s_mov_b32 s12, 0xaaaaaaaa
	;; [unrolled: 1-line block ×20, first 2 shown]
	v_mov_b32_e32 v97, 0
	s_movk_i32 s20, 0x1000
	s_waitcnt vmcnt(11)
	v_mul_f64 v[108:109], v[10:11], v[22:23]
	v_mul_f64 v[10:11], v[10:11], v[24:25]
	s_waitcnt vmcnt(9)
	v_mul_f64 v[114:115], v[58:59], v[30:31]
	s_waitcnt vmcnt(8)
	;; [unrolled: 2-line block ×4, first 2 shown]
	v_mul_f64 v[120:121], v[56:57], v[42:43]
	v_mul_f64 v[58:59], v[58:59], v[32:33]
	;; [unrolled: 1-line block ×7, first 2 shown]
	s_waitcnt lgkmcnt(7)
	v_fmac_f64_e32 v[114:115], v[0:1], v[32:33]
	s_waitcnt lgkmcnt(3)
	v_fma_f64 v[10:11], v[60:61], v[22:23], -v[10:11]
	v_fma_f64 v[0:1], v[0:1], v[30:31], -v[58:59]
	s_waitcnt lgkmcnt(1)
	v_fma_f64 v[6:7], v[68:69], v[46:47], -v[6:7]
	s_waitcnt lgkmcnt(0)
	v_fma_f64 v[14:15], v[72:73], v[38:39], -v[14:15]
	v_fma_f64 v[22:23], v[104:105], v[42:43], -v[56:57]
	v_fmac_f64_e32 v[108:109], v[60:61], v[24:25]
	v_fmac_f64_e32 v[110:111], v[64:65], v[28:29]
	;; [unrolled: 1-line block ×5, first 2 shown]
	v_fma_f64 v[18:19], v[64:65], v[26:27], -v[18:19]
	v_add_f64 v[38:39], v[0:1], v[6:7]
	v_add_f64 v[40:41], v[14:15], v[22:23]
	v_add_f64 v[24:25], v[108:109], -v[110:111]
	v_add_f64 v[30:31], v[114:115], -v[116:117]
	;; [unrolled: 1-line block ×3, first 2 shown]
	v_add_f64 v[26:27], v[10:11], v[18:19]
	v_add_f64 v[56:57], v[38:39], v[40:41]
	;; [unrolled: 1-line block ×3, first 2 shown]
	v_add_f64 v[44:45], v[24:25], -v[30:31]
	v_add_f64 v[46:47], v[32:33], -v[24:25]
	;; [unrolled: 1-line block ×4, first 2 shown]
	v_add_f64 v[26:27], v[26:27], v[56:57]
	v_add_f64 v[42:43], v[108:109], v[110:111]
	;; [unrolled: 1-line block ×5, first 2 shown]
	v_mov_b64_e32 v[34:35], v[28:29]
	v_add_f64 v[68:69], v[114:115], v[116:117]
	v_add_f64 v[108:109], v[104:105], -v[42:43]
	v_fmac_f64_e32 v[34:35], s[12:13], v[26:27]
	v_add_f64 v[26:27], v[42:43], -v[68:69]
	v_mul_f64 v[108:109], v[108:109], s[10:11]
	v_mul_f64 v[72:73], v[26:27], s[8:9]
	v_fma_f64 v[110:111], s[8:9], v[26:27], v[108:109]
	v_add_f64 v[26:27], v[68:69], v[104:105]
	v_add_f64 v[42:43], v[42:43], v[26:27]
	;; [unrolled: 1-line block ×3, first 2 shown]
	v_add_f64 v[2:3], v[10:11], -v[18:19]
	v_add_f64 v[0:1], v[0:1], -v[6:7]
	v_add_f64 v[6:7], v[2:3], v[0:1]
	v_add_f64 v[10:11], v[14:15], -v[22:23]
	v_mov_b64_e32 v[114:115], v[26:27]
	v_add_f64 v[6:7], v[6:7], v[10:11]
	v_add_f64 v[14:15], v[2:3], -v[0:1]
	v_add_f64 v[18:19], v[10:11], -v[2:3]
	v_add_f64 v[30:31], v[30:31], -v[32:33]
	v_add_f64 v[32:33], v[38:39], -v[40:41]
	v_add_f64 v[38:39], v[68:69], -v[104:105]
	v_add_f64 v[10:11], v[0:1], -v[10:11]
	v_mul_f64 v[44:45], v[44:45], s[2:3]
	v_mul_f64 v[60:61], v[24:25], s[8:9]
	;; [unrolled: 1-line block ×3, first 2 shown]
	v_fmac_f64_e32 v[114:115], s[12:13], v[42:43]
	v_mul_f64 v[14:15], v[14:15], s[2:3]
	v_mul_f64 v[2:3], v[30:31], s[4:5]
	v_fma_f64 v[40:41], v[38:39], s[18:19], -v[108:109]
	v_mul_f64 v[0:1], v[10:11], s[4:5]
	v_fma_f64 v[56:57], s[6:7], v[46:47], v[44:45]
	v_fma_f64 v[24:25], s[8:9], v[24:25], v[48:49]
	;; [unrolled: 1-line block ×3, first 2 shown]
	v_fma_f64 v[42:43], v[46:47], s[14:15], -v[2:3]
	v_fma_f64 v[2:3], v[32:33], s[18:19], -v[48:49]
	v_add_f64 v[48:49], v[40:41], v[114:115]
	v_fma_f64 v[18:19], v[18:19], s[14:15], -v[0:1]
	v_fma_f64 v[32:33], v[32:33], s[16:17], -v[60:61]
	;; [unrolled: 1-line block ×3, first 2 shown]
	v_fmac_f64_e32 v[56:57], s[0:1], v[58:59]
	v_add_f64 v[64:65], v[24:25], v[34:35]
	v_fmac_f64_e32 v[42:43], s[0:1], v[58:59]
	v_add_f64 v[46:47], v[2:3], v[34:35]
	;; [unrolled: 2-line block ×3, first 2 shown]
	v_fmac_f64_e32 v[40:41], s[0:1], v[58:59]
	v_fma_f64 v[10:11], v[10:11], s[4:5], -v[14:15]
	v_add_f64 v[24:25], v[56:57], v[64:65]
	v_fmac_f64_e32 v[116:117], s[0:1], v[6:7]
	v_add_f64 v[2:3], v[42:43], v[46:47]
	v_add_f64 v[0:1], v[48:49], -v[18:19]
	v_add_f64 v[32:33], v[34:35], -v[40:41]
	v_fmac_f64_e32 v[10:11], s[0:1], v[6:7]
	v_fma_f64 v[6:7], v[38:39], s[16:17], -v[72:73]
	v_add_f64 v[40:41], v[40:41], v[34:35]
	v_add_f64 v[44:45], v[46:47], -v[42:43]
	v_add_f64 v[42:43], v[18:19], v[48:49]
	v_add_f64 v[48:49], v[64:65], -v[56:57]
	s_waitcnt vmcnt(5)
	v_mul_f64 v[14:15], v[20:21], v[76:77]
	s_waitcnt vmcnt(4)
	v_mul_f64 v[18:19], v[16:17], v[80:81]
	;; [unrolled: 2-line block ×4, first 2 shown]
	v_add_f64 v[6:7], v[6:7], v[114:115]
	v_fmac_f64_e32 v[14:15], v[66:67], v[78:79]
	v_fmac_f64_e32 v[18:19], v[74:75], v[82:83]
	;; [unrolled: 1-line block ×4, first 2 shown]
	v_mul_f64 v[60:61], v[4:5], v[88:89]
	v_mul_f64 v[64:65], v[8:9], v[92:93]
	v_add_f64 v[30:31], v[10:11], v[6:7]
	v_add_f64 v[38:39], v[6:7], -v[10:11]
	v_add_f64 v[6:7], v[14:15], -v[18:19]
	v_add_f64 v[58:59], v[34:35], -v[56:57]
	v_fmac_f64_e32 v[60:61], v[36:37], v[90:91]
	v_fmac_f64_e32 v[64:65], v[70:71], v[94:95]
	v_add_f64 v[10:11], v[6:7], v[58:59]
	v_add_f64 v[68:69], v[60:61], -v[64:65]
	v_add_f64 v[72:73], v[10:11], v[68:69]
	v_add_f64 v[10:11], v[6:7], -v[58:59]
	v_add_f64 v[108:109], v[68:69], -v[6:7]
	v_mul_f64 v[6:7], v[16:17], v[82:83]
	v_mul_f64 v[4:5], v[4:5], v[90:91]
	v_mul_f64 v[104:105], v[10:11], s[2:3]
	v_fma_f64 v[16:17], v[74:75], v[80:81], -v[6:7]
	v_mul_f64 v[6:7], v[20:21], v[78:79]
	v_mul_f64 v[10:11], v[52:53], v[86:87]
	v_fma_f64 v[36:37], v[36:37], v[88:89], -v[4:5]
	v_mul_f64 v[4:5], v[8:9], v[94:95]
	v_fma_f64 v[20:21], v[66:67], v[76:77], -v[6:7]
	v_fma_f64 v[52:53], v[54:55], v[84:85], -v[10:11]
	v_mul_f64 v[10:11], v[12:13], v[102:103]
	v_fma_f64 v[8:9], v[70:71], v[92:93], -v[4:5]
	v_add_f64 v[6:7], v[20:21], v[16:17]
	v_fma_f64 v[12:13], v[62:63], v[100:101], -v[10:11]
	v_add_f64 v[66:67], v[36:37], v[8:9]
	v_add_f64 v[54:55], v[52:53], v[12:13]
	v_add_f64 v[4:5], v[66:67], -v[6:7]
	v_add_f64 v[10:11], v[6:7], -v[54:55]
	v_mul_f64 v[70:71], v[4:5], s[10:11]
	v_mul_f64 v[62:63], v[10:11], s[8:9]
	v_fma_f64 v[4:5], s[8:9], v[10:11], v[70:71]
	v_add_f64 v[10:11], v[54:55], v[66:67]
	v_add_f64 v[10:11], v[6:7], v[10:11]
	;; [unrolled: 1-line block ×3, first 2 shown]
	v_mov_b64_e32 v[74:75], v[6:7]
	v_fmac_f64_e32 v[74:75], s[12:13], v[10:11]
	v_add_f64 v[76:77], v[4:5], v[74:75]
	v_add_f64 v[4:5], v[14:15], v[18:19]
	;; [unrolled: 1-line block ×6, first 2 shown]
	v_add_f64 v[14:15], v[4:5], -v[18:19]
	v_add_f64 v[60:61], v[56:57], -v[4:5]
	v_add_f64 v[4:5], v[50:51], v[64:65]
	v_mul_f64 v[60:61], v[60:61], s[10:11]
	v_mov_b64_e32 v[50:51], v[4:5]
	v_mul_f64 v[34:35], v[14:15], s[8:9]
	v_fma_f64 v[14:15], s[8:9], v[14:15], v[60:61]
	v_fmac_f64_e32 v[50:51], s[12:13], v[64:65]
	v_add_f64 v[64:65], v[14:15], v[50:51]
	v_add_f64 v[14:15], v[20:21], -v[16:17]
	v_add_f64 v[12:13], v[52:53], -v[12:13]
	v_add_f64 v[16:17], v[14:15], v[12:13]
	v_add_f64 v[20:21], v[36:37], -v[8:9]
	v_add_f64 v[16:17], v[16:17], v[20:21]
	v_add_f64 v[8:9], v[14:15], -v[12:13]
	v_add_f64 v[52:53], v[20:21], -v[14:15]
	;; [unrolled: 1-line block ×4, first 2 shown]
	v_mul_f64 v[36:37], v[8:9], s[2:3]
	v_mul_f64 v[14:15], v[58:59], s[4:5]
	v_add_f64 v[54:55], v[54:55], -v[66:67]
	v_mul_f64 v[12:13], v[20:21], s[4:5]
	v_fma_f64 v[78:79], s[6:7], v[52:53], v[36:37]
	v_fma_f64 v[68:69], v[108:109], s[14:15], -v[14:15]
	v_fma_f64 v[14:15], v[54:55], s[18:19], -v[70:71]
	v_add_f64 v[56:57], v[18:19], -v[56:57]
	v_fma_f64 v[70:71], v[52:53], s[14:15], -v[12:13]
	v_fma_f64 v[20:21], v[20:21], s[4:5], -v[36:37]
	v_add_f64 v[110:111], v[110:111], v[114:115]
	v_fmac_f64_e32 v[78:79], s[0:1], v[16:17]
	v_fma_f64 v[18:19], v[56:57], s[18:19], -v[60:61]
	v_fmac_f64_e32 v[70:71], s[0:1], v[16:17]
	v_fmac_f64_e32 v[20:21], s[0:1], v[16:17]
	v_fma_f64 v[16:17], v[56:57], s[16:17], -v[34:35]
	v_add_f64 v[22:23], v[110:111], -v[116:117]
	v_add_f64 v[46:47], v[116:117], v[110:111]
	v_fma_f64 v[110:111], s[6:7], v[108:109], v[104:105]
	v_add_f64 v[60:61], v[18:19], v[50:51]
	v_fma_f64 v[18:19], v[54:55], s[16:17], -v[62:63]
	v_fma_f64 v[54:55], v[58:59], s[4:5], -v[104:105]
	v_add_f64 v[34:35], v[16:17], v[50:51]
	v_fmac_f64_e32 v[110:111], s[0:1], v[72:73]
	v_add_f64 v[52:53], v[18:19], v[74:75]
	v_fmac_f64_e32 v[54:55], s[0:1], v[72:73]
	v_add_f64 v[16:17], v[20:21], v[34:35]
	v_add_f64 v[34:35], v[34:35], -v[20:21]
	v_lshl_add_u64 v[20:21], v[96:97], 4, v[98:99]
	v_fmac_f64_e32 v[68:69], s[0:1], v[72:73]
	v_add_f64 v[66:67], v[14:15], v[74:75]
	v_add_f64 v[18:19], v[52:53], -v[54:55]
	v_add_f64 v[36:37], v[54:55], v[52:53]
	v_add_f64 v[56:57], v[76:77], -v[110:111]
	v_add_f64 v[54:55], v[78:79], v[64:65]
	global_store_dwordx4 v[20:21], v[4:7], off
	global_store_dwordx4 v[20:21], v[54:57], off offset:2720
	v_add_f64 v[52:53], v[66:67], -v[68:69]
	v_add_co_u32_e32 v4, vcc, s20, v20
	v_add_f64 v[50:51], v[70:71], v[60:61]
	s_nop 0
	v_addc_co_u32_e32 v5, vcc, 0, v21, vcc
	s_movk_i32 s0, 0x2000
	global_store_dwordx4 v[4:5], v[50:53], off offset:1344
	global_store_dwordx4 v[4:5], v[34:37], off offset:4064
	v_add_co_u32_e32 v4, vcc, s0, v20
	s_movk_i32 s1, 0x3000
	s_nop 0
	v_addc_co_u32_e32 v5, vcc, 0, v21, vcc
	global_store_dwordx4 v[4:5], v[16:19], off offset:2688
	v_add_co_u32_e32 v4, vcc, s1, v20
	v_add_f64 v[14:15], v[68:69], v[66:67]
	v_add_f64 v[12:13], v[60:61], -v[70:71]
	v_addc_co_u32_e32 v5, vcc, 0, v21, vcc
	s_mov_b32 s1, 0xc0c0c0c1
	v_add_f64 v[10:11], v[110:111], v[76:77]
	v_add_f64 v[8:9], v[64:65], -v[78:79]
	global_store_dwordx4 v[4:5], v[12:15], off offset:1312
	global_store_dwordx4 v[4:5], v[8:11], off offset:4032
	v_mul_hi_u32 v4, v112, s1
	v_lshrrev_b32_e32 v4, 7, v4
	v_mul_u32_u24_e32 v96, 0x3fc, v4
	v_lshl_add_u64 v[4:5], v[96:97], 4, v[20:21]
	v_add_co_u32_e32 v6, vcc, s20, v4
	global_store_dwordx4 v[4:5], v[26:29], off offset:1360
	global_store_dwordx4 v[4:5], v[46:49], off offset:4080
	v_addc_co_u32_e32 v7, vcc, 0, v5, vcc
	global_store_dwordx4 v[6:7], v[42:45], off offset:2704
	v_add_co_u32_e32 v6, vcc, s0, v4
	s_nop 1
	v_addc_co_u32_e32 v7, vcc, 0, v5, vcc
	global_store_dwordx4 v[6:7], v[38:41], off offset:1328
	global_store_dwordx4 v[6:7], v[30:33], off offset:4048
	v_add_co_u32_e32 v6, vcc, 0x3000, v4
	s_nop 1
	v_addc_co_u32_e32 v7, vcc, 0, v5, vcc
	global_store_dwordx4 v[6:7], v[0:3], off offset:2672
	s_nop 1
	v_add_co_u32_e32 v0, vcc, 0x4000, v4
	s_nop 1
	v_addc_co_u32_e32 v1, vcc, 0, v5, vcc
	global_store_dwordx4 v[0:1], v[22:25], off offset:1296
.LBB0_24:
	s_endpgm
	.section	.rodata,"a",@progbits
	.p2align	6, 0x0
	.amdhsa_kernel fft_rtc_back_len1190_factors_17_2_5_7_wgs_255_tpt_85_halfLds_dp_ip_CI_unitstride_sbrr_dirReg
		.amdhsa_group_segment_fixed_size 0
		.amdhsa_private_segment_fixed_size 0
		.amdhsa_kernarg_size 88
		.amdhsa_user_sgpr_count 2
		.amdhsa_user_sgpr_dispatch_ptr 0
		.amdhsa_user_sgpr_queue_ptr 0
		.amdhsa_user_sgpr_kernarg_segment_ptr 1
		.amdhsa_user_sgpr_dispatch_id 0
		.amdhsa_user_sgpr_kernarg_preload_length 0
		.amdhsa_user_sgpr_kernarg_preload_offset 0
		.amdhsa_user_sgpr_private_segment_size 0
		.amdhsa_uses_dynamic_stack 0
		.amdhsa_enable_private_segment 0
		.amdhsa_system_sgpr_workgroup_id_x 1
		.amdhsa_system_sgpr_workgroup_id_y 0
		.amdhsa_system_sgpr_workgroup_id_z 0
		.amdhsa_system_sgpr_workgroup_info 0
		.amdhsa_system_vgpr_workitem_id 0
		.amdhsa_next_free_vgpr 158
		.amdhsa_next_free_sgpr 56
		.amdhsa_accum_offset 160
		.amdhsa_reserve_vcc 1
		.amdhsa_float_round_mode_32 0
		.amdhsa_float_round_mode_16_64 0
		.amdhsa_float_denorm_mode_32 3
		.amdhsa_float_denorm_mode_16_64 3
		.amdhsa_dx10_clamp 1
		.amdhsa_ieee_mode 1
		.amdhsa_fp16_overflow 0
		.amdhsa_tg_split 0
		.amdhsa_exception_fp_ieee_invalid_op 0
		.amdhsa_exception_fp_denorm_src 0
		.amdhsa_exception_fp_ieee_div_zero 0
		.amdhsa_exception_fp_ieee_overflow 0
		.amdhsa_exception_fp_ieee_underflow 0
		.amdhsa_exception_fp_ieee_inexact 0
		.amdhsa_exception_int_div_zero 0
	.end_amdhsa_kernel
	.text
.Lfunc_end0:
	.size	fft_rtc_back_len1190_factors_17_2_5_7_wgs_255_tpt_85_halfLds_dp_ip_CI_unitstride_sbrr_dirReg, .Lfunc_end0-fft_rtc_back_len1190_factors_17_2_5_7_wgs_255_tpt_85_halfLds_dp_ip_CI_unitstride_sbrr_dirReg
                                        ; -- End function
	.section	.AMDGPU.csdata,"",@progbits
; Kernel info:
; codeLenInByte = 13692
; NumSgprs: 62
; NumVgprs: 158
; NumAgprs: 0
; TotalNumVgprs: 158
; ScratchSize: 0
; MemoryBound: 1
; FloatMode: 240
; IeeeMode: 1
; LDSByteSize: 0 bytes/workgroup (compile time only)
; SGPRBlocks: 7
; VGPRBlocks: 19
; NumSGPRsForWavesPerEU: 62
; NumVGPRsForWavesPerEU: 158
; AccumOffset: 160
; Occupancy: 3
; WaveLimiterHint : 1
; COMPUTE_PGM_RSRC2:SCRATCH_EN: 0
; COMPUTE_PGM_RSRC2:USER_SGPR: 2
; COMPUTE_PGM_RSRC2:TRAP_HANDLER: 0
; COMPUTE_PGM_RSRC2:TGID_X_EN: 1
; COMPUTE_PGM_RSRC2:TGID_Y_EN: 0
; COMPUTE_PGM_RSRC2:TGID_Z_EN: 0
; COMPUTE_PGM_RSRC2:TIDIG_COMP_CNT: 0
; COMPUTE_PGM_RSRC3_GFX90A:ACCUM_OFFSET: 39
; COMPUTE_PGM_RSRC3_GFX90A:TG_SPLIT: 0
	.text
	.p2alignl 6, 3212836864
	.fill 256, 4, 3212836864
	.type	__hip_cuid_54b4edfac2defec0,@object ; @__hip_cuid_54b4edfac2defec0
	.section	.bss,"aw",@nobits
	.globl	__hip_cuid_54b4edfac2defec0
__hip_cuid_54b4edfac2defec0:
	.byte	0                               ; 0x0
	.size	__hip_cuid_54b4edfac2defec0, 1

	.ident	"AMD clang version 19.0.0git (https://github.com/RadeonOpenCompute/llvm-project roc-6.4.0 25133 c7fe45cf4b819c5991fe208aaa96edf142730f1d)"
	.section	".note.GNU-stack","",@progbits
	.addrsig
	.addrsig_sym __hip_cuid_54b4edfac2defec0
	.amdgpu_metadata
---
amdhsa.kernels:
  - .agpr_count:     0
    .args:
      - .actual_access:  read_only
        .address_space:  global
        .offset:         0
        .size:           8
        .value_kind:     global_buffer
      - .offset:         8
        .size:           8
        .value_kind:     by_value
      - .actual_access:  read_only
        .address_space:  global
        .offset:         16
        .size:           8
        .value_kind:     global_buffer
      - .actual_access:  read_only
        .address_space:  global
        .offset:         24
        .size:           8
        .value_kind:     global_buffer
      - .offset:         32
        .size:           8
        .value_kind:     by_value
      - .actual_access:  read_only
        .address_space:  global
        .offset:         40
        .size:           8
        .value_kind:     global_buffer
      - .actual_access:  read_only
        .address_space:  global
        .offset:         48
        .size:           8
        .value_kind:     global_buffer
      - .offset:         56
        .size:           4
        .value_kind:     by_value
      - .actual_access:  read_only
        .address_space:  global
        .offset:         64
        .size:           8
        .value_kind:     global_buffer
      - .actual_access:  read_only
        .address_space:  global
        .offset:         72
        .size:           8
        .value_kind:     global_buffer
      - .address_space:  global
        .offset:         80
        .size:           8
        .value_kind:     global_buffer
    .group_segment_fixed_size: 0
    .kernarg_segment_align: 8
    .kernarg_segment_size: 88
    .language:       OpenCL C
    .language_version:
      - 2
      - 0
    .max_flat_workgroup_size: 255
    .name:           fft_rtc_back_len1190_factors_17_2_5_7_wgs_255_tpt_85_halfLds_dp_ip_CI_unitstride_sbrr_dirReg
    .private_segment_fixed_size: 0
    .sgpr_count:     62
    .sgpr_spill_count: 0
    .symbol:         fft_rtc_back_len1190_factors_17_2_5_7_wgs_255_tpt_85_halfLds_dp_ip_CI_unitstride_sbrr_dirReg.kd
    .uniform_work_group_size: 1
    .uses_dynamic_stack: false
    .vgpr_count:     158
    .vgpr_spill_count: 0
    .wavefront_size: 64
amdhsa.target:   amdgcn-amd-amdhsa--gfx950
amdhsa.version:
  - 1
  - 2
...

	.end_amdgpu_metadata
